;; amdgpu-corpus repo=ROCm/rocFFT kind=compiled arch=gfx906 opt=O3
	.text
	.amdgcn_target "amdgcn-amd-amdhsa--gfx906"
	.amdhsa_code_object_version 6
	.protected	bluestein_single_fwd_len169_dim1_sp_op_CI_CI ; -- Begin function bluestein_single_fwd_len169_dim1_sp_op_CI_CI
	.globl	bluestein_single_fwd_len169_dim1_sp_op_CI_CI
	.p2align	8
	.type	bluestein_single_fwd_len169_dim1_sp_op_CI_CI,@function
bluestein_single_fwd_len169_dim1_sp_op_CI_CI: ; @bluestein_single_fwd_len169_dim1_sp_op_CI_CI
; %bb.0:
	v_mul_u32_u24_e32 v1, 0x13b2, v0
	s_load_dwordx4 s[12:15], s[4:5], 0x28
	v_lshrrev_b32_e32 v1, 16, v1
	v_mad_u64_u32 v[34:35], s[0:1], s6, 19, v[1:2]
	v_mov_b32_e32 v35, 0
	s_waitcnt lgkmcnt(0)
	v_cmp_gt_u64_e32 vcc, s[12:13], v[34:35]
	s_and_saveexec_b64 s[0:1], vcc
	s_cbranch_execz .LBB0_2
; %bb.1:
	s_load_dwordx4 s[0:3], s[4:5], 0x18
	s_load_dwordx4 s[8:11], s[4:5], 0x0
	v_mul_lo_u16_e32 v1, 13, v1
	v_sub_u16_e32 v54, v0, v1
	v_mov_b32_e32 v7, s15
	s_waitcnt lgkmcnt(0)
	s_load_dwordx4 s[16:19], s[0:1], 0x0
	s_add_u32 s6, s8, 0x548
	s_addc_u32 s7, s9, 0
	v_lshlrev_b32_e32 v51, 3, v54
	s_mov_b32 s13, 0x3f116cb1
	s_waitcnt lgkmcnt(0)
	v_mad_u64_u32 v[0:1], s[0:1], s18, v34, 0
	v_mad_u64_u32 v[2:3], s[0:1], s16, v54, 0
	s_mov_b32 s12, 0x3df6dbef
	s_mov_b32 s15, 0xbeb58ec6
	v_mad_u64_u32 v[4:5], s[0:1], s19, v34, v[1:2]
	v_mad_u64_u32 v[5:6], s[0:1], s17, v54, v[3:4]
	v_mov_b32_e32 v1, v4
	v_lshlrev_b64 v[0:1], 3, v[0:1]
	v_mov_b32_e32 v3, v5
	v_add_co_u32_e32 v4, vcc, s14, v0
	v_addc_co_u32_e32 v5, vcc, v7, v1, vcc
	v_lshlrev_b64 v[0:1], 3, v[2:3]
	s_mul_i32 s0, s17, 0x68
	v_add_co_u32_e32 v0, vcc, v4, v0
	s_mul_hi_u32 s1, s16, 0x68
	v_addc_co_u32_e32 v1, vcc, v5, v1, vcc
	s_add_i32 s0, s1, s0
	s_mul_i32 s1, s16, 0x68
	global_load_dwordx2 v[2:3], v[0:1], off
	v_mov_b32_e32 v4, s0
	v_add_co_u32_e32 v0, vcc, s1, v0
	v_addc_co_u32_e32 v1, vcc, v1, v4, vcc
	v_mov_b32_e32 v5, s0
	v_add_co_u32_e32 v4, vcc, s1, v0
	v_addc_co_u32_e32 v5, vcc, v1, v5, vcc
	;; [unrolled: 3-line block ×4, first 2 shown]
	global_load_dwordx2 v[49:50], v51, s[8:9]
	global_load_dwordx2 v[47:48], v51, s[8:9] offset:104
	global_load_dwordx2 v[43:44], v51, s[8:9] offset:208
	;; [unrolled: 1-line block ×3, first 2 shown]
	global_load_dwordx2 v[10:11], v[0:1], off
	global_load_dwordx2 v[12:13], v[4:5], off
	;; [unrolled: 1-line block ×4, first 2 shown]
	v_mov_b32_e32 v1, s0
	v_add_co_u32_e32 v0, vcc, s1, v8
	v_addc_co_u32_e32 v1, vcc, v9, v1, vcc
	global_load_dwordx2 v[4:5], v[0:1], off
	v_mov_b32_e32 v6, s0
	v_add_co_u32_e32 v0, vcc, s1, v0
	v_addc_co_u32_e32 v1, vcc, v1, v6, vcc
	global_load_dwordx2 v[6:7], v[0:1], off
	;; [unrolled: 4-line block ×3, first 2 shown]
	global_load_dwordx2 v[45:46], v51, s[8:9] offset:416
	global_load_dwordx2 v[41:42], v51, s[8:9] offset:520
	;; [unrolled: 1-line block ×4, first 2 shown]
	v_mov_b32_e32 v18, s0
	v_add_co_u32_e32 v0, vcc, s1, v0
	v_addc_co_u32_e32 v1, vcc, v1, v18, vcc
	global_load_dwordx2 v[18:19], v[0:1], off
	v_mov_b32_e32 v20, s0
	v_add_co_u32_e32 v0, vcc, s1, v0
	v_addc_co_u32_e32 v1, vcc, v1, v20, vcc
	global_load_dwordx2 v[20:21], v[0:1], off
	global_load_dwordx2 v[35:36], v51, s[8:9] offset:832
	global_load_dwordx2 v[28:29], v51, s[8:9] offset:936
	v_mov_b32_e32 v22, s0
	v_add_co_u32_e32 v0, vcc, s1, v0
	v_addc_co_u32_e32 v1, vcc, v1, v22, vcc
	global_load_dwordx2 v[22:23], v[0:1], off
	v_mov_b32_e32 v24, s0
	v_add_co_u32_e32 v0, vcc, s1, v0
	v_addc_co_u32_e32 v1, vcc, v1, v24, vcc
	global_load_dwordx2 v[30:31], v51, s[8:9] offset:1040
	global_load_dwordx2 v[55:56], v[0:1], off
	global_load_dwordx2 v[26:27], v51, s[8:9] offset:1144
	v_add_co_u32_e32 v0, vcc, s1, v0
	v_addc_co_u32_e32 v1, vcc, v1, v24, vcc
	global_load_dwordx2 v[57:58], v[0:1], off
	global_load_dwordx2 v[24:25], v51, s[8:9] offset:1248
	s_mov_b32 s0, 0xaf286bcb
	v_mul_hi_u32 v0, v34, s0
	s_load_dwordx4 s[0:3], s[2:3], 0x0
	s_mov_b32 s14, 0x3f62ad3f
	s_mov_b32 s16, 0xbf3f9e67
	v_sub_u32_e32 v1, v34, v0
	v_lshrrev_b32_e32 v1, 1, v1
	v_add_u32_e32 v0, v1, v0
	v_lshrrev_b32_e32 v0, 4, v0
	v_mul_lo_u32 v0, v0, 19
	s_mov_b32 s17, 0xbf788fa5
	v_sub_u32_e32 v0, v34, v0
	v_mul_u32_u24_e32 v0, 0xa9, v0
	v_lshlrev_b32_e32 v0, 3, v0
	v_add_u32_e32 v53, v51, v0
	s_waitcnt vmcnt(24)
	v_mul_f32_e32 v1, v3, v50
	v_fmac_f32_e32 v1, v2, v49
	v_mul_f32_e32 v2, v2, v50
	v_fma_f32 v2, v3, v49, -v2
	s_waitcnt vmcnt(20)
	v_mul_f32_e32 v59, v11, v48
	v_mul_f32_e32 v3, v10, v48
	v_fmac_f32_e32 v59, v10, v47
	v_fma_f32 v60, v11, v47, -v3
	ds_write2_b64 v53, v[1:2], v[59:60] offset1:13
	s_waitcnt vmcnt(19)
	v_mul_f32_e32 v1, v13, v44
	v_mul_f32_e32 v2, v12, v44
	s_waitcnt vmcnt(18)
	v_mul_f32_e32 v10, v15, v40
	v_mul_f32_e32 v3, v14, v40
	v_fmac_f32_e32 v1, v12, v43
	v_fma_f32 v2, v13, v43, -v2
	v_fmac_f32_e32 v10, v14, v39
	v_fma_f32 v11, v15, v39, -v3
	ds_write2_b64 v53, v[1:2], v[10:11] offset0:26 offset1:39
	s_waitcnt vmcnt(13)
	v_mul_f32_e32 v1, v17, v46
	s_waitcnt vmcnt(12)
	v_mul_f32_e32 v3, v5, v42
	v_mul_f32_e32 v2, v16, v46
	v_fmac_f32_e32 v3, v4, v41
	v_mul_f32_e32 v4, v4, v42
	v_fmac_f32_e32 v1, v16, v45
	v_fma_f32 v2, v17, v45, -v2
	v_fma_f32 v4, v5, v41, -v4
	ds_write2_b64 v53, v[1:2], v[3:4] offset0:52 offset1:65
	s_waitcnt vmcnt(11)
	v_mul_f32_e32 v1, v7, v38
	v_mul_f32_e32 v2, v6, v38
	s_waitcnt vmcnt(10)
	v_mul_f32_e32 v3, v9, v33
	v_mul_f32_e32 v4, v8, v33
	v_fmac_f32_e32 v1, v6, v37
	v_fma_f32 v2, v7, v37, -v2
	v_fmac_f32_e32 v3, v8, v32
	v_fma_f32 v4, v9, v32, -v4
	ds_write2_b64 v53, v[1:2], v[3:4] offset0:78 offset1:91
	s_waitcnt vmcnt(7)
	v_mul_f32_e32 v1, v19, v36
	v_mul_f32_e32 v2, v18, v36
	s_waitcnt vmcnt(6)
	v_mul_f32_e32 v3, v21, v29
	v_mul_f32_e32 v4, v20, v29
	v_fmac_f32_e32 v1, v18, v35
	v_fma_f32 v2, v19, v35, -v2
	v_fmac_f32_e32 v3, v20, v28
	;; [unrolled: 11-line block ×3, first 2 shown]
	v_fma_f32 v4, v56, v26, -v4
	ds_write2_b64 v53, v[1:2], v[3:4] offset0:130 offset1:143
	s_waitcnt vmcnt(0)
	v_mul_f32_e32 v1, v58, v25
	v_mul_f32_e32 v2, v57, v25
	v_fmac_f32_e32 v1, v57, v24
	v_fma_f32 v2, v58, v24, -v2
	ds_write_b64 v53, v[1:2] offset:1248
	s_waitcnt lgkmcnt(0)
	s_barrier
	ds_read2_b64 v[1:4], v53 offset1:13
	ds_read2_b64 v[5:8], v53 offset0:26 offset1:39
	ds_read2_b64 v[9:12], v53 offset0:52 offset1:65
	;; [unrolled: 1-line block ×5, first 2 shown]
	ds_read_b64 v[21:22], v53 offset:1248
	s_waitcnt lgkmcnt(6)
	v_add_f32_e32 v23, v1, v3
	v_add_f32_e32 v52, v2, v4
	s_waitcnt lgkmcnt(5)
	v_add_f32_e32 v23, v23, v5
	v_add_f32_e32 v52, v52, v6
	v_add_f32_e32 v23, v23, v7
	v_add_f32_e32 v52, v52, v8
	s_waitcnt lgkmcnt(4)
	v_add_f32_e32 v23, v23, v9
	v_add_f32_e32 v52, v52, v10
	;; [unrolled: 5-line block ×6, first 2 shown]
	v_add_f32_e32 v23, v21, v3
	v_add_f32_e32 v52, v22, v4
	v_sub_f32_e32 v3, v3, v21
	v_sub_f32_e32 v4, v4, v22
	v_mul_f32_e32 v21, 0xbeedf032, v4
	v_mul_f32_e32 v61, 0xbeedf032, v3
	v_mul_f32_e32 v63, 0xbf52af12, v4
	v_mul_f32_e32 v65, 0xbf52af12, v3
	v_mul_f32_e32 v67, 0xbf7e222b, v4
	v_mul_f32_e32 v69, 0xbf7e222b, v3
	v_mul_f32_e32 v71, 0xbf6f5d39, v4
	v_mul_f32_e32 v73, 0xbf6f5d39, v3
	v_mul_f32_e32 v75, 0xbf29c268, v4
	v_mul_f32_e32 v77, 0xbf29c268, v3
	v_mul_f32_e32 v4, 0xbe750f2a, v4
	v_mul_f32_e32 v3, 0xbe750f2a, v3
	v_fma_f32 v22, v23, s14, -v21
	v_fmac_f32_e32 v21, 0x3f62ad3f, v23
	v_fma_f32 v64, v23, s13, -v63
	v_fmac_f32_e32 v63, 0x3f116cb1, v23
	;; [unrolled: 2-line block ×5, first 2 shown]
	v_fma_f32 v79, v23, s17, -v4
	v_mov_b32_e32 v80, v3
	v_fmac_f32_e32 v4, 0xbf788fa5, v23
	v_add_f32_e32 v22, v1, v22
	v_fma_f32 v62, v52, s14, -v61
	v_fmac_f32_e32 v61, 0x3f62ad3f, v52
	v_add_f32_e32 v21, v1, v21
	v_add_f32_e32 v64, v1, v64
	v_fma_f32 v66, v52, s13, -v65
	v_fmac_f32_e32 v65, 0x3f116cb1, v52
	v_add_f32_e32 v63, v1, v63
	;; [unrolled: 4-line block ×5, first 2 shown]
	v_add_f32_e32 v79, v1, v79
	v_fmac_f32_e32 v80, 0xbf788fa5, v52
	v_add_f32_e32 v1, v1, v4
	v_fma_f32 v3, v52, s17, -v3
	v_add_f32_e32 v4, v58, v6
	v_sub_f32_e32 v6, v6, v58
	v_add_f32_e32 v61, v2, v61
	v_add_f32_e32 v62, v2, v62
	;; [unrolled: 1-line block ×13, first 2 shown]
	v_mul_f32_e32 v23, 0xbf52af12, v6
	v_sub_f32_e32 v5, v5, v57
	v_fma_f32 v52, v3, s13, -v23
	v_add_f32_e32 v22, v52, v22
	v_mul_f32_e32 v52, 0xbf52af12, v5
	v_fma_f32 v57, v4, s13, -v52
	v_fmac_f32_e32 v23, 0x3f116cb1, v3
	v_add_f32_e32 v21, v23, v21
	v_add_f32_e32 v23, v57, v62
	v_mul_f32_e32 v57, 0xbf6f5d39, v6
	v_fmac_f32_e32 v52, 0x3f116cb1, v4
	v_fma_f32 v58, v3, s15, -v57
	v_fmac_f32_e32 v57, 0xbeb58ec6, v3
	v_add_f32_e32 v52, v52, v61
	v_mul_f32_e32 v61, 0xbf6f5d39, v5
	v_add_f32_e32 v57, v57, v63
	v_mul_f32_e32 v63, 0xbe750f2a, v6
	v_add_f32_e32 v58, v58, v64
	v_fma_f32 v62, v4, s15, -v61
	v_fmac_f32_e32 v61, 0xbeb58ec6, v4
	v_fma_f32 v64, v3, s17, -v63
	v_fmac_f32_e32 v63, 0xbf788fa5, v3
	v_add_f32_e32 v61, v61, v65
	v_mul_f32_e32 v65, 0xbe750f2a, v5
	v_add_f32_e32 v63, v63, v67
	v_mul_f32_e32 v67, 0x3f29c268, v6
	v_add_f32_e32 v62, v62, v66
	v_add_f32_e32 v64, v64, v68
	v_fma_f32 v66, v4, s17, -v65
	v_fmac_f32_e32 v65, 0xbf788fa5, v4
	v_fma_f32 v68, v3, s16, -v67
	v_fmac_f32_e32 v67, 0xbf3f9e67, v3
	v_add_f32_e32 v65, v65, v69
	v_mul_f32_e32 v69, 0x3f29c268, v5
	v_add_f32_e32 v67, v67, v71
	v_mul_f32_e32 v71, 0x3f7e222b, v6
	v_add_f32_e32 v66, v66, v70
	v_add_f32_e32 v68, v68, v72
	v_fma_f32 v70, v4, s16, -v69
	v_fmac_f32_e32 v69, 0xbf3f9e67, v4
	v_fma_f32 v72, v3, s12, -v71
	v_fmac_f32_e32 v71, 0x3df6dbef, v3
	v_mul_f32_e32 v6, 0x3eedf032, v6
	v_add_f32_e32 v69, v69, v73
	v_mul_f32_e32 v73, 0x3f7e222b, v5
	v_add_f32_e32 v71, v71, v75
	v_fma_f32 v75, v3, s14, -v6
	v_mul_f32_e32 v5, 0x3eedf032, v5
	v_fmac_f32_e32 v6, 0x3f62ad3f, v3
	v_add_f32_e32 v1, v6, v1
	v_fma_f32 v3, v4, s14, -v5
	v_sub_f32_e32 v6, v8, v56
	v_add_f32_e32 v72, v72, v76
	v_mov_b32_e32 v76, v5
	v_add_f32_e32 v2, v3, v2
	v_add_f32_e32 v3, v55, v7
	v_sub_f32_e32 v5, v7, v55
	v_mul_f32_e32 v7, 0xbf7e222b, v6
	v_add_f32_e32 v70, v70, v74
	v_fma_f32 v74, v4, s12, -v73
	v_fmac_f32_e32 v73, 0x3df6dbef, v4
	v_fmac_f32_e32 v76, 0x3f62ad3f, v4
	v_add_f32_e32 v4, v56, v8
	v_fma_f32 v8, v3, s12, -v7
	v_add_f32_e32 v8, v8, v22
	v_mul_f32_e32 v22, 0xbf7e222b, v5
	v_fma_f32 v55, v4, s12, -v22
	v_fmac_f32_e32 v7, 0x3df6dbef, v3
	v_fmac_f32_e32 v22, 0x3df6dbef, v4
	v_add_f32_e32 v7, v7, v21
	v_add_f32_e32 v21, v55, v23
	v_mul_f32_e32 v23, 0xbe750f2a, v6
	v_add_f32_e32 v22, v22, v52
	v_fma_f32 v52, v3, s17, -v23
	v_fmac_f32_e32 v23, 0xbf788fa5, v3
	v_mul_f32_e32 v55, 0xbe750f2a, v5
	v_add_f32_e32 v23, v23, v57
	v_mul_f32_e32 v57, 0x3f6f5d39, v6
	v_add_f32_e32 v52, v52, v58
	v_fma_f32 v56, v4, s17, -v55
	v_fmac_f32_e32 v55, 0xbf788fa5, v4
	v_fma_f32 v58, v3, s15, -v57
	v_fmac_f32_e32 v57, 0xbeb58ec6, v3
	v_add_f32_e32 v55, v55, v61
	v_mul_f32_e32 v61, 0x3f6f5d39, v5
	v_add_f32_e32 v57, v57, v63
	v_mul_f32_e32 v63, 0x3eedf032, v6
	v_add_f32_e32 v56, v56, v62
	v_add_f32_e32 v58, v58, v64
	v_fma_f32 v62, v4, s15, -v61
	v_fmac_f32_e32 v61, 0xbeb58ec6, v4
	v_fma_f32 v64, v3, s14, -v63
	v_fmac_f32_e32 v63, 0x3f62ad3f, v3
	v_add_f32_e32 v61, v61, v65
	v_mul_f32_e32 v65, 0x3eedf032, v5
	v_add_f32_e32 v63, v63, v67
	v_mul_f32_e32 v67, 0xbf52af12, v6
	v_add_f32_e32 v62, v62, v66
	v_add_f32_e32 v64, v64, v68
	v_fma_f32 v66, v4, s14, -v65
	v_fmac_f32_e32 v65, 0x3f62ad3f, v4
	v_fma_f32 v68, v3, s13, -v67
	v_fmac_f32_e32 v67, 0x3f116cb1, v3
	v_mul_f32_e32 v6, 0xbf29c268, v6
	v_add_f32_e32 v65, v65, v69
	v_mul_f32_e32 v69, 0xbf52af12, v5
	v_add_f32_e32 v67, v67, v71
	v_fma_f32 v71, v3, s16, -v6
	v_mul_f32_e32 v5, 0xbf29c268, v5
	v_fmac_f32_e32 v6, 0xbf3f9e67, v3
	v_add_f32_e32 v1, v6, v1
	v_fma_f32 v3, v4, s16, -v5
	v_sub_f32_e32 v6, v10, v20
	v_add_f32_e32 v68, v68, v72
	v_mov_b32_e32 v72, v5
	v_add_f32_e32 v2, v3, v2
	v_add_f32_e32 v3, v19, v9
	v_sub_f32_e32 v5, v9, v19
	v_mul_f32_e32 v9, 0xbf6f5d39, v6
	v_add_f32_e32 v66, v66, v70
	v_fma_f32 v70, v4, s13, -v69
	v_fmac_f32_e32 v69, 0x3f116cb1, v4
	v_fmac_f32_e32 v72, 0xbf3f9e67, v4
	v_add_f32_e32 v4, v20, v10
	v_fma_f32 v10, v3, s15, -v9
	v_add_f32_e32 v8, v10, v8
	v_mul_f32_e32 v10, 0xbf6f5d39, v5
	v_fma_f32 v19, v4, s15, -v10
	v_fmac_f32_e32 v9, 0xbeb58ec6, v3
	v_add_f32_e32 v7, v9, v7
	v_add_f32_e32 v9, v19, v21
	v_mul_f32_e32 v19, 0x3f29c268, v6
	v_fma_f32 v20, v3, s16, -v19
	v_fmac_f32_e32 v19, 0xbf3f9e67, v3
	v_fmac_f32_e32 v10, 0xbeb58ec6, v4
	v_mul_f32_e32 v21, 0x3f29c268, v5
	v_add_f32_e32 v19, v19, v23
	v_mul_f32_e32 v23, 0x3eedf032, v6
	v_add_f32_e32 v10, v10, v22
	v_add_f32_e32 v20, v20, v52
	v_fma_f32 v22, v4, s16, -v21
	v_fmac_f32_e32 v21, 0xbf3f9e67, v4
	v_fma_f32 v52, v3, s14, -v23
	v_fmac_f32_e32 v23, 0x3f62ad3f, v3
	v_add_f32_e32 v21, v21, v55
	v_mul_f32_e32 v55, 0x3eedf032, v5
	v_add_f32_e32 v23, v23, v57
	v_mul_f32_e32 v57, 0xbf7e222b, v6
	v_add_f32_e32 v22, v22, v56
	v_add_f32_e32 v52, v52, v58
	v_fma_f32 v56, v4, s14, -v55
	v_fmac_f32_e32 v55, 0x3f62ad3f, v4
	v_fma_f32 v58, v3, s12, -v57
	v_fmac_f32_e32 v57, 0x3df6dbef, v3
	v_add_f32_e32 v55, v55, v61
	v_mul_f32_e32 v61, 0xbf7e222b, v5
	v_add_f32_e32 v57, v57, v63
	v_mul_f32_e32 v63, 0x3e750f2a, v6
	v_add_f32_e32 v56, v56, v62
	v_add_f32_e32 v58, v58, v64
	v_fma_f32 v62, v4, s12, -v61
	v_fmac_f32_e32 v61, 0x3df6dbef, v4
	v_fma_f32 v64, v3, s17, -v63
	v_fmac_f32_e32 v63, 0xbf788fa5, v3
	v_mul_f32_e32 v6, 0x3f52af12, v6
	v_add_f32_e32 v61, v61, v65
	v_mul_f32_e32 v65, 0x3e750f2a, v5
	v_add_f32_e32 v63, v63, v67
	v_fma_f32 v67, v3, s13, -v6
	v_mul_f32_e32 v5, 0x3f52af12, v5
	v_fmac_f32_e32 v6, 0x3f116cb1, v3
	v_add_f32_e32 v1, v6, v1
	v_fma_f32 v3, v4, s13, -v5
	v_sub_f32_e32 v6, v12, v18
	v_add_f32_e32 v64, v64, v68
	v_mov_b32_e32 v68, v5
	v_add_f32_e32 v2, v3, v2
	v_add_f32_e32 v3, v17, v11
	v_sub_f32_e32 v5, v11, v17
	v_mul_f32_e32 v11, 0xbf29c268, v6
	v_add_f32_e32 v62, v62, v66
	v_fma_f32 v66, v4, s17, -v65
	v_fmac_f32_e32 v65, 0xbf788fa5, v4
	v_fmac_f32_e32 v68, 0x3f116cb1, v4
	v_add_f32_e32 v4, v18, v12
	v_fma_f32 v12, v3, s16, -v11
	v_add_f32_e32 v8, v12, v8
	v_mul_f32_e32 v12, 0xbf29c268, v5
	v_fmac_f32_e32 v11, 0xbf3f9e67, v3
	v_fma_f32 v17, v4, s16, -v12
	v_fmac_f32_e32 v12, 0xbf3f9e67, v4
	v_add_f32_e32 v7, v11, v7
	v_mul_f32_e32 v11, 0x3f7e222b, v6
	v_add_f32_e32 v10, v12, v10
	v_add_f32_e32 v9, v17, v9
	v_fma_f32 v12, v3, s12, -v11
	v_mul_f32_e32 v17, 0x3f7e222b, v5
	v_fmac_f32_e32 v11, 0x3df6dbef, v3
	v_fma_f32 v18, v4, s12, -v17
	v_fmac_f32_e32 v17, 0x3df6dbef, v4
	v_add_f32_e32 v11, v11, v19
	v_mul_f32_e32 v19, 0xbf52af12, v6
	v_add_f32_e32 v12, v12, v20
	v_add_f32_e32 v17, v17, v21
	v_fma_f32 v20, v3, s13, -v19
	v_mul_f32_e32 v21, 0xbf52af12, v5
	v_fmac_f32_e32 v19, 0x3f116cb1, v3
	v_add_f32_e32 v18, v18, v22
	v_fma_f32 v22, v4, s13, -v21
	v_fmac_f32_e32 v21, 0x3f116cb1, v4
	v_add_f32_e32 v19, v19, v23
	v_mul_f32_e32 v23, 0x3e750f2a, v6
	v_add_f32_e32 v20, v20, v52
	v_add_f32_e32 v21, v21, v55
	v_fma_f32 v52, v3, s17, -v23
	v_mul_f32_e32 v55, 0x3e750f2a, v5
	v_fmac_f32_e32 v23, 0xbf788fa5, v3
	v_add_f32_e32 v73, v73, v77
	v_add_f32_e32 v74, v74, v78
	;; [unrolled: 1-line block ×4, first 2 shown]
	v_fma_f32 v56, v4, s17, -v55
	v_fmac_f32_e32 v55, 0xbf788fa5, v4
	v_add_f32_e32 v23, v23, v57
	v_mul_f32_e32 v57, 0x3eedf032, v6
	v_add_f32_e32 v69, v69, v73
	v_add_f32_e32 v70, v70, v74
	;; [unrolled: 1-line block ×5, first 2 shown]
	v_fma_f32 v58, v3, s14, -v57
	v_mul_f32_e32 v61, 0x3eedf032, v5
	v_fmac_f32_e32 v57, 0x3f62ad3f, v3
	v_mul_f32_e32 v6, 0xbf6f5d39, v6
	v_add_f32_e32 v76, v76, v80
	v_add_f32_e32 v65, v65, v69
	;; [unrolled: 1-line block ×5, first 2 shown]
	v_fma_f32 v62, v4, s14, -v61
	v_fmac_f32_e32 v61, 0x3f62ad3f, v4
	v_add_f32_e32 v57, v57, v63
	v_fma_f32 v63, v3, s15, -v6
	v_mul_f32_e32 v5, 0xbf6f5d39, v5
	v_fmac_f32_e32 v6, 0xbeb58ec6, v3
	v_sub_f32_e32 v70, v14, v16
	v_add_f32_e32 v72, v72, v76
	v_add_f32_e32 v58, v58, v64
	;; [unrolled: 1-line block ×4, first 2 shown]
	v_mov_b32_e32 v64, v5
	v_add_f32_e32 v65, v6, v1
	v_fma_f32 v1, v4, s15, -v5
	v_add_f32_e32 v67, v15, v13
	v_mul_f32_e32 v3, 0xbe750f2a, v70
	v_add_f32_e32 v68, v68, v72
	v_add_f32_e32 v62, v62, v66
	v_fmac_f32_e32 v64, 0xbeb58ec6, v4
	v_add_f32_e32 v66, v1, v2
	v_sub_f32_e32 v69, v13, v15
	v_fma_f32 v1, v67, s17, -v3
	v_fmac_f32_e32 v3, 0xbf788fa5, v67
	v_add_f32_e32 v64, v64, v68
	v_add_f32_e32 v68, v16, v14
	v_mul_f32_e32 v2, 0xbe750f2a, v69
	v_add_f32_e32 v3, v3, v7
	v_mul_f32_e32 v7, 0x3eedf032, v70
	v_fma_f32 v4, v68, s17, -v2
	v_fmac_f32_e32 v2, 0xbf788fa5, v68
	v_fma_f32 v5, v67, s14, -v7
	v_fmac_f32_e32 v7, 0x3f62ad3f, v67
	v_mul_f32_e32 v15, 0x3f52af12, v70
	v_add_f32_e32 v2, v2, v10
	v_add_f32_e32 v7, v7, v11
	v_mul_f32_e32 v11, 0xbf29c268, v70
	v_mul_f32_e32 v10, 0xbf29c268, v69
	v_fma_f32 v13, v67, s13, -v15
	v_fmac_f32_e32 v15, 0x3f116cb1, v67
	v_add_f32_e32 v4, v4, v9
	v_add_f32_e32 v5, v5, v12
	v_mul_f32_e32 v6, 0x3eedf032, v69
	v_fma_f32 v9, v67, s16, -v11
	v_fma_f32 v12, v68, s16, -v10
	v_fmac_f32_e32 v10, 0xbf3f9e67, v68
	v_fmac_f32_e32 v11, 0xbf3f9e67, v67
	v_mul_f32_e32 v14, 0x3f52af12, v69
	v_add_f32_e32 v15, v15, v23
	v_mul_f32_e32 v23, 0x3f7e222b, v70
	v_add_f32_e32 v1, v1, v8
	v_fma_f32 v8, v68, s14, -v6
	v_fmac_f32_e32 v6, 0x3f62ad3f, v68
	v_add_f32_e32 v10, v10, v21
	v_add_f32_e32 v11, v11, v19
	;; [unrolled: 1-line block ×3, first 2 shown]
	v_fma_f32 v16, v68, s13, -v14
	v_mul_f32_e32 v19, 0xbf6f5d39, v70
	v_fma_f32 v21, v67, s12, -v23
	v_mul_f32_e32 v52, 0x3f7e222b, v69
	v_fmac_f32_e32 v23, 0x3df6dbef, v67
	v_add_f32_e32 v6, v6, v17
	v_add_f32_e32 v16, v16, v56
	v_fma_f32 v17, v67, s15, -v19
	v_fmac_f32_e32 v19, 0xbeb58ec6, v67
	v_add_f32_e32 v56, v23, v65
	v_fma_f32 v23, v68, s12, -v52
	v_add_f32_e32 v8, v8, v18
	v_add_f32_e32 v12, v12, v22
	v_fmac_f32_e32 v14, 0x3f116cb1, v68
	v_mul_f32_e32 v18, 0xbf6f5d39, v69
	v_add_f32_e32 v19, v19, v57
	v_mov_b32_e32 v22, v52
	v_add_f32_e32 v57, v23, v66
	v_mul_lo_u16_e32 v23, 13, v54
	v_add_f32_e32 v9, v9, v20
	v_add_f32_e32 v14, v14, v55
	v_fma_f32 v20, v68, s15, -v18
	v_fmac_f32_e32 v18, 0xbeb58ec6, v68
	v_fmac_f32_e32 v22, 0x3df6dbef, v68
	v_lshl_add_u32 v55, v23, 3, v0
	v_mul_u32_u24_e32 v0, 12, v54
	v_add_f32_e32 v17, v17, v58
	v_add_f32_e32 v18, v18, v61
	;; [unrolled: 1-line block ×5, first 2 shown]
	v_lshlrev_b32_e32 v52, 3, v0
	s_barrier
	ds_write2_b64 v55, v[59:60], v[1:2] offset1:1
	ds_write2_b64 v55, v[5:6], v[9:10] offset0:2 offset1:3
	ds_write2_b64 v55, v[13:14], v[17:18] offset0:4 offset1:5
	;; [unrolled: 1-line block ×5, first 2 shown]
	ds_write_b64 v55, v[3:4] offset:96
	s_waitcnt lgkmcnt(0)
	s_barrier
	global_load_dwordx4 v[16:19], v52, s[10:11]
	global_load_dwordx4 v[8:11], v52, s[10:11] offset:16
	global_load_dwordx4 v[4:7], v52, s[10:11] offset:32
	;; [unrolled: 1-line block ×5, first 2 shown]
	ds_read2_b64 v[56:59], v53 offset1:13
	ds_read2_b64 v[60:63], v53 offset0:26 offset1:39
	ds_read2_b64 v[64:67], v53 offset0:52 offset1:65
	ds_read2_b64 v[68:71], v53 offset0:78 offset1:91
	ds_read2_b64 v[72:75], v53 offset0:104 offset1:117
	ds_read2_b64 v[76:79], v53 offset0:130 offset1:143
	ds_read_b64 v[80:81], v53 offset:1248
	s_waitcnt vmcnt(5) lgkmcnt(6)
	v_mul_f32_e32 v52, v59, v17
	v_fma_f32 v52, v58, v16, -v52
	v_mul_f32_e32 v82, v58, v17
	s_waitcnt lgkmcnt(5)
	v_mul_f32_e32 v58, v61, v19
	v_fma_f32 v83, v60, v18, -v58
	v_mul_f32_e32 v60, v60, v19
	s_waitcnt vmcnt(4)
	v_mul_f32_e32 v58, v63, v9
	v_fmac_f32_e32 v60, v61, v18
	v_fma_f32 v61, v62, v8, -v58
	v_mul_f32_e32 v62, v62, v9
	s_waitcnt lgkmcnt(4)
	v_mul_f32_e32 v58, v65, v11
	v_fmac_f32_e32 v62, v63, v8
	v_fma_f32 v63, v64, v10, -v58
	v_mul_f32_e32 v64, v64, v11
	s_waitcnt vmcnt(3)
	v_mul_f32_e32 v58, v67, v5
	v_fmac_f32_e32 v64, v65, v10
	v_fma_f32 v65, v66, v4, -v58
	v_mul_f32_e32 v66, v66, v5
	s_waitcnt lgkmcnt(3)
	v_mul_f32_e32 v58, v69, v7
	v_fmac_f32_e32 v66, v67, v4
	;; [unrolled: 10-line block ×5, first 2 shown]
	v_fmac_f32_e32 v78, v79, v12
	v_fma_f32 v79, v80, v14, -v58
	v_add_f32_e32 v58, v56, v52
	v_add_f32_e32 v59, v57, v82
	v_add_f32_e32 v58, v58, v83
	v_add_f32_e32 v59, v59, v60
	v_add_f32_e32 v58, v58, v61
	v_add_f32_e32 v59, v59, v62
	v_add_f32_e32 v58, v58, v63
	v_add_f32_e32 v59, v59, v64
	v_add_f32_e32 v58, v58, v65
	v_add_f32_e32 v59, v59, v66
	v_add_f32_e32 v58, v58, v67
	v_add_f32_e32 v59, v59, v68
	v_add_f32_e32 v58, v58, v69
	v_add_f32_e32 v59, v59, v70
	v_add_f32_e32 v58, v58, v71
	v_add_f32_e32 v59, v59, v72
	v_add_f32_e32 v58, v58, v73
	v_mul_f32_e32 v80, v80, v15
	v_add_f32_e32 v59, v59, v74
	v_add_f32_e32 v58, v58, v75
	v_fmac_f32_e32 v80, v81, v14
	v_add_f32_e32 v59, v59, v76
	v_add_f32_e32 v58, v58, v77
	;; [unrolled: 1-line block ×5, first 2 shown]
	v_sub_f32_e32 v52, v52, v79
	v_sub_f32_e32 v79, v82, v80
	v_add_f32_e32 v59, v59, v80
	v_add_f32_e32 v84, v82, v80
	v_mul_f32_e32 v80, 0xbeedf032, v79
	v_mul_f32_e32 v85, 0xbeedf032, v52
	;; [unrolled: 1-line block ×12, first 2 shown]
	v_fma_f32 v82, v81, s14, -v80
	v_fmac_f32_e32 v80, 0x3f62ad3f, v81
	v_fma_f32 v88, v81, s13, -v87
	v_fmac_f32_e32 v87, 0x3f116cb1, v81
	;; [unrolled: 2-line block ×5, first 2 shown]
	v_fma_f32 v103, v81, s17, -v79
	v_mov_b32_e32 v104, v52
	v_fmac_f32_e32 v79, 0xbf788fa5, v81
	v_add_f32_e32 v82, v56, v82
	v_fma_f32 v86, v84, s14, -v85
	v_fmac_f32_e32 v85, 0x3f62ad3f, v84
	v_add_f32_e32 v80, v56, v80
	v_add_f32_e32 v88, v56, v88
	v_fma_f32 v90, v84, s13, -v89
	v_fmac_f32_e32 v89, 0x3f116cb1, v84
	v_add_f32_e32 v87, v56, v87
	;; [unrolled: 4-line block ×5, first 2 shown]
	v_add_f32_e32 v103, v56, v103
	v_fmac_f32_e32 v104, 0xbf788fa5, v84
	v_add_f32_e32 v56, v56, v79
	v_fma_f32 v52, v84, s17, -v52
	v_add_f32_e32 v79, v60, v78
	v_sub_f32_e32 v60, v60, v78
	v_add_f32_e32 v85, v57, v85
	v_add_f32_e32 v86, v57, v86
	;; [unrolled: 1-line block ×13, first 2 shown]
	v_mul_f32_e32 v78, 0xbf52af12, v60
	v_sub_f32_e32 v77, v83, v77
	v_fma_f32 v81, v57, s13, -v78
	v_add_f32_e32 v81, v81, v82
	v_mul_f32_e32 v82, 0xbf52af12, v77
	v_fma_f32 v83, v79, s13, -v82
	v_fmac_f32_e32 v78, 0x3f116cb1, v57
	v_fmac_f32_e32 v82, 0x3f116cb1, v79
	v_add_f32_e32 v78, v78, v80
	v_add_f32_e32 v80, v83, v86
	v_mul_f32_e32 v83, 0xbf6f5d39, v60
	v_add_f32_e32 v82, v82, v85
	v_fma_f32 v84, v57, s15, -v83
	v_mul_f32_e32 v85, 0xbf6f5d39, v77
	v_fmac_f32_e32 v83, 0xbeb58ec6, v57
	v_fma_f32 v86, v79, s15, -v85
	v_fmac_f32_e32 v85, 0xbeb58ec6, v79
	v_add_f32_e32 v83, v83, v87
	v_mul_f32_e32 v87, 0xbe750f2a, v60
	v_add_f32_e32 v84, v84, v88
	v_add_f32_e32 v85, v85, v89
	v_fma_f32 v88, v57, s17, -v87
	v_mul_f32_e32 v89, 0xbe750f2a, v77
	v_fmac_f32_e32 v87, 0xbf788fa5, v57
	v_add_f32_e32 v86, v86, v90
	v_fma_f32 v90, v79, s17, -v89
	v_fmac_f32_e32 v89, 0xbf788fa5, v79
	v_add_f32_e32 v87, v87, v91
	v_mul_f32_e32 v91, 0x3f29c268, v60
	v_add_f32_e32 v88, v88, v92
	v_add_f32_e32 v89, v89, v93
	v_fma_f32 v92, v57, s16, -v91
	v_mul_f32_e32 v93, 0x3f29c268, v77
	v_fmac_f32_e32 v91, 0xbf3f9e67, v57
	v_add_f32_e32 v90, v90, v94
	v_fma_f32 v94, v79, s16, -v93
	v_fmac_f32_e32 v93, 0xbf3f9e67, v79
	v_add_f32_e32 v91, v91, v95
	v_mul_f32_e32 v95, 0x3f7e222b, v60
	v_add_f32_e32 v92, v92, v96
	v_add_f32_e32 v93, v93, v97
	v_fma_f32 v96, v57, s12, -v95
	v_mul_f32_e32 v97, 0x3f7e222b, v77
	v_fmac_f32_e32 v95, 0x3df6dbef, v57
	v_mul_f32_e32 v60, 0x3eedf032, v60
	v_mul_f32_e32 v77, 0x3eedf032, v77
	v_add_f32_e32 v95, v95, v99
	v_fma_f32 v99, v57, s14, -v60
	v_fmac_f32_e32 v60, 0x3f62ad3f, v57
	v_fma_f32 v57, v79, s14, -v77
	v_add_f32_e32 v56, v60, v56
	v_add_f32_e32 v52, v57, v52
	;; [unrolled: 1-line block ×4, first 2 shown]
	v_sub_f32_e32 v61, v61, v75
	v_sub_f32_e32 v62, v62, v76
	v_add_f32_e32 v96, v96, v100
	v_mov_b32_e32 v100, v77
	v_mul_f32_e32 v75, 0xbf7e222b, v62
	v_mul_f32_e32 v77, 0xbf7e222b, v61
	v_add_f32_e32 v94, v94, v98
	v_fma_f32 v98, v79, s12, -v97
	v_fmac_f32_e32 v97, 0x3df6dbef, v79
	v_fmac_f32_e32 v100, 0x3f62ad3f, v79
	v_fma_f32 v76, v57, s12, -v75
	v_fma_f32 v79, v60, s12, -v77
	v_fmac_f32_e32 v75, 0x3df6dbef, v57
	v_add_f32_e32 v75, v75, v78
	v_add_f32_e32 v78, v79, v80
	v_mul_f32_e32 v79, 0xbe750f2a, v62
	v_fma_f32 v80, v57, s17, -v79
	v_fmac_f32_e32 v79, 0xbf788fa5, v57
	v_add_f32_e32 v76, v76, v81
	v_fmac_f32_e32 v77, 0x3df6dbef, v60
	v_mul_f32_e32 v81, 0xbe750f2a, v61
	v_add_f32_e32 v79, v79, v83
	v_mul_f32_e32 v83, 0x3f6f5d39, v62
	v_add_f32_e32 v77, v77, v82
	v_add_f32_e32 v80, v80, v84
	v_fma_f32 v82, v60, s17, -v81
	v_fmac_f32_e32 v81, 0xbf788fa5, v60
	v_fma_f32 v84, v57, s15, -v83
	v_fmac_f32_e32 v83, 0xbeb58ec6, v57
	v_add_f32_e32 v81, v81, v85
	v_mul_f32_e32 v85, 0x3f6f5d39, v61
	v_add_f32_e32 v83, v83, v87
	v_mul_f32_e32 v87, 0x3eedf032, v62
	v_add_f32_e32 v82, v82, v86
	v_add_f32_e32 v84, v84, v88
	v_fma_f32 v86, v60, s15, -v85
	v_fmac_f32_e32 v85, 0xbeb58ec6, v60
	v_fma_f32 v88, v57, s14, -v87
	v_fmac_f32_e32 v87, 0x3f62ad3f, v57
	v_add_f32_e32 v85, v85, v89
	v_mul_f32_e32 v89, 0x3eedf032, v61
	v_add_f32_e32 v87, v87, v91
	v_mul_f32_e32 v91, 0xbf52af12, v62
	v_add_f32_e32 v86, v86, v90
	v_add_f32_e32 v88, v88, v92
	v_fma_f32 v90, v60, s14, -v89
	v_fmac_f32_e32 v89, 0x3f62ad3f, v60
	v_fma_f32 v92, v57, s13, -v91
	v_fmac_f32_e32 v91, 0x3f116cb1, v57
	v_mul_f32_e32 v62, 0xbf29c268, v62
	v_add_f32_e32 v89, v89, v93
	v_mul_f32_e32 v93, 0xbf52af12, v61
	v_add_f32_e32 v91, v91, v95
	v_fma_f32 v95, v57, s16, -v62
	v_mul_f32_e32 v61, 0xbf29c268, v61
	v_fmac_f32_e32 v62, 0xbf3f9e67, v57
	v_add_f32_e32 v56, v62, v56
	v_fma_f32 v57, v60, s16, -v61
	v_sub_f32_e32 v62, v64, v74
	v_add_f32_e32 v92, v92, v96
	v_mov_b32_e32 v96, v61
	v_add_f32_e32 v52, v57, v52
	v_add_f32_e32 v57, v63, v73
	v_sub_f32_e32 v61, v63, v73
	v_mul_f32_e32 v63, 0xbf6f5d39, v62
	v_add_f32_e32 v90, v90, v94
	v_fma_f32 v94, v60, s13, -v93
	v_fmac_f32_e32 v93, 0x3f116cb1, v60
	v_fmac_f32_e32 v96, 0xbf3f9e67, v60
	v_add_f32_e32 v60, v64, v74
	v_fma_f32 v64, v57, s15, -v63
	v_fmac_f32_e32 v63, 0xbeb58ec6, v57
	v_mul_f32_e32 v73, 0xbf6f5d39, v61
	v_add_f32_e32 v63, v63, v75
	v_mul_f32_e32 v75, 0x3f29c268, v62
	v_add_f32_e32 v64, v64, v76
	v_fma_f32 v74, v60, s15, -v73
	v_fmac_f32_e32 v73, 0xbeb58ec6, v60
	v_fma_f32 v76, v57, s16, -v75
	v_fmac_f32_e32 v75, 0xbf3f9e67, v57
	v_add_f32_e32 v73, v73, v77
	v_mul_f32_e32 v77, 0x3f29c268, v61
	v_add_f32_e32 v75, v75, v79
	v_mul_f32_e32 v79, 0x3eedf032, v62
	v_add_f32_e32 v74, v74, v78
	v_add_f32_e32 v76, v76, v80
	v_fma_f32 v78, v60, s16, -v77
	v_fmac_f32_e32 v77, 0xbf3f9e67, v60
	v_fma_f32 v80, v57, s14, -v79
	v_fmac_f32_e32 v79, 0x3f62ad3f, v57
	v_add_f32_e32 v77, v77, v81
	v_mul_f32_e32 v81, 0x3eedf032, v61
	v_add_f32_e32 v79, v79, v83
	v_mul_f32_e32 v83, 0xbf7e222b, v62
	v_add_f32_e32 v78, v78, v82
	;; [unrolled: 10-line block ×3, first 2 shown]
	v_add_f32_e32 v84, v84, v88
	v_fma_f32 v86, v60, s12, -v85
	v_fmac_f32_e32 v85, 0x3df6dbef, v60
	v_fma_f32 v88, v57, s17, -v87
	v_fmac_f32_e32 v87, 0xbf788fa5, v57
	v_mul_f32_e32 v62, 0x3f52af12, v62
	v_add_f32_e32 v85, v85, v89
	v_mul_f32_e32 v89, 0x3e750f2a, v61
	v_add_f32_e32 v87, v87, v91
	v_fma_f32 v91, v57, s13, -v62
	v_mul_f32_e32 v61, 0x3f52af12, v61
	v_fmac_f32_e32 v62, 0x3f116cb1, v57
	v_add_f32_e32 v56, v62, v56
	v_fma_f32 v57, v60, s13, -v61
	v_sub_f32_e32 v62, v66, v72
	v_add_f32_e32 v88, v88, v92
	v_mov_b32_e32 v92, v61
	v_add_f32_e32 v52, v57, v52
	v_add_f32_e32 v57, v65, v71
	v_sub_f32_e32 v61, v65, v71
	v_mul_f32_e32 v65, 0xbf29c268, v62
	v_add_f32_e32 v86, v86, v90
	v_fma_f32 v90, v60, s17, -v89
	v_fmac_f32_e32 v89, 0xbf788fa5, v60
	v_fmac_f32_e32 v92, 0x3f116cb1, v60
	v_add_f32_e32 v60, v66, v72
	v_fma_f32 v66, v57, s16, -v65
	v_add_f32_e32 v64, v66, v64
	v_mul_f32_e32 v66, 0xbf29c268, v61
	v_fma_f32 v71, v60, s16, -v66
	v_fmac_f32_e32 v65, 0xbf3f9e67, v57
	v_fmac_f32_e32 v66, 0xbf3f9e67, v60
	v_add_f32_e32 v63, v65, v63
	v_add_f32_e32 v65, v71, v74
	v_mul_f32_e32 v71, 0x3f7e222b, v62
	v_add_f32_e32 v66, v66, v73
	v_fma_f32 v72, v57, s12, -v71
	v_mul_f32_e32 v73, 0x3f7e222b, v61
	v_fmac_f32_e32 v71, 0x3df6dbef, v57
	v_fma_f32 v74, v60, s12, -v73
	v_fmac_f32_e32 v73, 0x3df6dbef, v60
	v_add_f32_e32 v71, v71, v75
	v_mul_f32_e32 v75, 0xbf52af12, v62
	v_add_f32_e32 v72, v72, v76
	v_add_f32_e32 v73, v73, v77
	v_fma_f32 v76, v57, s13, -v75
	v_mul_f32_e32 v77, 0xbf52af12, v61
	v_fmac_f32_e32 v75, 0x3f116cb1, v57
	v_add_f32_e32 v74, v74, v78
	v_fma_f32 v78, v60, s13, -v77
	v_fmac_f32_e32 v77, 0x3f116cb1, v60
	v_add_f32_e32 v75, v75, v79
	v_mul_f32_e32 v79, 0x3e750f2a, v62
	v_add_f32_e32 v76, v76, v80
	v_add_f32_e32 v77, v77, v81
	v_fma_f32 v80, v57, s17, -v79
	v_mul_f32_e32 v81, 0x3e750f2a, v61
	v_fmac_f32_e32 v79, 0xbf788fa5, v57
	v_add_f32_e32 v97, v97, v101
	v_add_f32_e32 v98, v98, v102
	;; [unrolled: 1-line block ×3, first 2 shown]
	v_fma_f32 v82, v60, s17, -v81
	v_fmac_f32_e32 v81, 0xbf788fa5, v60
	v_add_f32_e32 v79, v79, v83
	v_mul_f32_e32 v83, 0x3eedf032, v62
	v_add_f32_e32 v100, v100, v104
	v_add_f32_e32 v93, v93, v97
	;; [unrolled: 1-line block ×5, first 2 shown]
	v_fma_f32 v84, v57, s14, -v83
	v_mul_f32_e32 v85, 0x3eedf032, v61
	v_fmac_f32_e32 v83, 0x3f62ad3f, v57
	v_mul_f32_e32 v62, 0xbf6f5d39, v62
	v_mul_f32_e32 v61, 0xbf6f5d39, v61
	v_add_f32_e32 v99, v99, v103
	v_add_f32_e32 v96, v96, v100
	;; [unrolled: 1-line block ×6, first 2 shown]
	v_fma_f32 v86, v60, s14, -v85
	v_fmac_f32_e32 v85, 0x3f62ad3f, v60
	v_add_f32_e32 v83, v83, v87
	v_fma_f32 v87, v57, s15, -v62
	v_mov_b32_e32 v88, v61
	v_fmac_f32_e32 v62, 0xbeb58ec6, v57
	v_sub_f32_e32 v93, v68, v70
	v_add_f32_e32 v95, v95, v99
	v_add_f32_e32 v92, v92, v96
	;; [unrolled: 1-line block ×4, first 2 shown]
	v_fmac_f32_e32 v88, 0xbeb58ec6, v60
	v_add_f32_e32 v89, v62, v56
	v_fma_f32 v56, v60, s15, -v61
	v_add_f32_e32 v90, v67, v69
	v_mul_f32_e32 v60, 0xbe750f2a, v93
	v_add_f32_e32 v91, v91, v95
	v_add_f32_e32 v88, v88, v92
	;; [unrolled: 1-line block ×3, first 2 shown]
	v_sub_f32_e32 v92, v67, v69
	v_fma_f32 v56, v90, s17, -v60
	v_add_f32_e32 v87, v87, v91
	v_add_f32_e32 v91, v68, v70
	v_add_f32_e32 v56, v56, v64
	v_mul_f32_e32 v57, 0xbe750f2a, v92
	v_fmac_f32_e32 v60, 0xbf788fa5, v90
	v_mul_f32_e32 v64, 0x3eedf032, v93
	v_fma_f32 v61, v91, s17, -v57
	v_add_f32_e32 v60, v60, v63
	v_fma_f32 v62, v90, s14, -v64
	v_mul_f32_e32 v63, 0x3eedf032, v92
	v_fmac_f32_e32 v64, 0x3f62ad3f, v90
	v_add_f32_e32 v61, v61, v65
	v_fma_f32 v65, v91, s14, -v63
	v_fmac_f32_e32 v63, 0x3f62ad3f, v91
	v_add_f32_e32 v64, v64, v71
	v_mul_f32_e32 v71, 0x3f52af12, v92
	v_fmac_f32_e32 v57, 0xbf788fa5, v91
	v_add_f32_e32 v62, v62, v72
	v_add_f32_e32 v63, v63, v73
	v_mul_f32_e32 v68, 0xbf29c268, v93
	v_mul_f32_e32 v72, 0x3f52af12, v93
	v_fma_f32 v73, v91, s13, -v71
	v_fmac_f32_e32 v71, 0x3f116cb1, v91
	v_add_f32_e32 v57, v57, v66
	v_fma_f32 v66, v90, s16, -v68
	v_mul_f32_e32 v67, 0xbf29c268, v92
	v_fmac_f32_e32 v68, 0xbf3f9e67, v90
	v_fma_f32 v70, v90, s13, -v72
	v_add_f32_e32 v71, v71, v81
	v_fmac_f32_e32 v72, 0x3f116cb1, v90
	v_mul_f32_e32 v81, 0x3f7e222b, v92
	v_add_f32_e32 v66, v66, v76
	v_fma_f32 v69, v91, s16, -v67
	v_fmac_f32_e32 v67, 0xbf3f9e67, v91
	v_add_f32_e32 v68, v68, v75
	v_add_f32_e32 v70, v70, v80
	;; [unrolled: 1-line block ×3, first 2 shown]
	v_mul_f32_e32 v76, 0xbf6f5d39, v93
	v_mul_f32_e32 v75, 0xbf6f5d39, v92
	;; [unrolled: 1-line block ×3, first 2 shown]
	v_mov_b32_e32 v79, v81
	v_add_f32_e32 v65, v65, v74
	v_add_f32_e32 v67, v67, v77
	;; [unrolled: 1-line block ×3, first 2 shown]
	v_fma_f32 v74, v90, s15, -v76
	v_fma_f32 v77, v91, s15, -v75
	v_fmac_f32_e32 v75, 0xbeb58ec6, v91
	v_fmac_f32_e32 v76, 0xbeb58ec6, v90
	v_fma_f32 v78, v90, s12, -v80
	v_fmac_f32_e32 v79, 0x3df6dbef, v91
	v_fmac_f32_e32 v80, 0x3df6dbef, v90
	v_fma_f32 v81, v91, s12, -v81
	v_add_f32_e32 v73, v73, v82
	v_add_f32_e32 v74, v74, v84
	;; [unrolled: 1-line block ×9, first 2 shown]
	ds_write2_b64 v53, v[58:59], v[56:57] offset1:13
	ds_write2_b64 v53, v[62:63], v[66:67] offset0:26 offset1:39
	ds_write2_b64 v53, v[70:71], v[74:75] offset0:52 offset1:65
	;; [unrolled: 1-line block ×5, first 2 shown]
	ds_write_b64 v53, v[60:61] offset:1248
	s_waitcnt lgkmcnt(0)
	s_barrier
	global_load_dwordx2 v[60:61], v51, s[8:9] offset:1352
	global_load_dwordx2 v[64:65], v51, s[6:7] offset:104
	;; [unrolled: 1-line block ×13, first 2 shown]
	ds_read2_b64 v[56:59], v53 offset1:13
	v_mad_u64_u32 v[51:52], s[6:7], s2, v34, 0
	s_load_dwordx2 s[6:7], s[4:5], 0x38
	s_mov_b32 s4, 0x7ab2bedd
	s_mov_b32 s5, 0x3f783c97
	s_waitcnt vmcnt(12) lgkmcnt(0)
	v_mul_f32_e32 v62, v57, v61
	v_mul_f32_e32 v89, v56, v61
	v_fma_f32 v88, v56, v60, -v62
	v_fmac_f32_e32 v89, v57, v60
	ds_read2_b64 v[60:63], v53 offset0:26 offset1:39
	s_waitcnt vmcnt(11)
	v_mul_f32_e32 v56, v59, v65
	v_mul_f32_e32 v57, v58, v65
	v_fma_f32 v56, v58, v64, -v56
	v_fmac_f32_e32 v57, v59, v64
	ds_write2_b64 v53, v[88:89], v[56:57] offset1:13
	s_waitcnt vmcnt(10) lgkmcnt(1)
	v_mul_f32_e32 v56, v61, v67
	v_fma_f32 v64, v60, v66, -v56
	ds_read2_b64 v[56:59], v53 offset0:52 offset1:65
	v_mul_f32_e32 v65, v60, v67
	v_fmac_f32_e32 v65, v61, v66
	s_waitcnt vmcnt(9)
	v_mul_f32_e32 v60, v63, v69
	v_mul_f32_e32 v61, v62, v69
	v_fma_f32 v60, v62, v68, -v60
	v_fmac_f32_e32 v61, v63, v68
	ds_write2_b64 v53, v[64:65], v[60:61] offset0:26 offset1:39
	s_waitcnt vmcnt(8) lgkmcnt(1)
	v_mul_f32_e32 v60, v57, v71
	v_fma_f32 v64, v56, v70, -v60
	ds_read2_b64 v[60:63], v53 offset0:78 offset1:91
	v_mul_f32_e32 v65, v56, v71
	v_fmac_f32_e32 v65, v57, v70
	s_waitcnt vmcnt(7)
	v_mul_f32_e32 v56, v59, v73
	v_mul_f32_e32 v57, v58, v73
	v_fma_f32 v56, v58, v72, -v56
	v_fmac_f32_e32 v57, v59, v72
	ds_write2_b64 v53, v[64:65], v[56:57] offset0:52 offset1:65
	;; [unrolled: 12-line block ×3, first 2 shown]
	s_waitcnt vmcnt(4) lgkmcnt(1)
	v_mul_f32_e32 v60, v57, v79
	v_fma_f32 v64, v56, v78, -v60
	ds_read2_b64 v[60:63], v53 offset0:130 offset1:143
	v_mul_f32_e32 v65, v56, v79
	v_fmac_f32_e32 v65, v57, v78
	s_waitcnt vmcnt(3)
	v_mul_f32_e32 v56, v59, v81
	v_mul_f32_e32 v57, v58, v81
	v_fma_f32 v56, v58, v80, -v56
	v_fmac_f32_e32 v57, v59, v80
	ds_read_b64 v[58:59], v53 offset:1248
	ds_write2_b64 v53, v[64:65], v[56:57] offset0:104 offset1:117
	s_waitcnt vmcnt(2) lgkmcnt(2)
	v_mul_f32_e32 v56, v61, v83
	v_mul_f32_e32 v57, v60, v83
	v_fma_f32 v56, v60, v82, -v56
	v_fmac_f32_e32 v57, v61, v82
	s_waitcnt vmcnt(1)
	v_mul_f32_e32 v60, v63, v85
	v_mul_f32_e32 v61, v62, v85
	v_fma_f32 v60, v62, v84, -v60
	v_fmac_f32_e32 v61, v63, v84
	ds_write2_b64 v53, v[56:57], v[60:61] offset0:130 offset1:143
	s_waitcnt vmcnt(0) lgkmcnt(2)
	v_mul_f32_e32 v56, v59, v87
	v_mul_f32_e32 v57, v58, v87
	v_fma_f32 v56, v58, v86, -v56
	v_fmac_f32_e32 v57, v59, v86
	ds_write_b64 v53, v[56:57] offset:1248
	s_waitcnt lgkmcnt(0)
	s_barrier
	ds_read2_b64 v[56:59], v53 offset1:13
	ds_read2_b64 v[60:63], v53 offset0:26 offset1:39
	ds_read2_b64 v[64:67], v53 offset0:52 offset1:65
	;; [unrolled: 1-line block ×5, first 2 shown]
	ds_read_b64 v[80:81], v53 offset:1248
	s_waitcnt lgkmcnt(6)
	v_add_f32_e32 v82, v56, v58
	s_waitcnt lgkmcnt(5)
	v_add_f32_e32 v82, v82, v60
	v_add_f32_e32 v83, v57, v59
	v_add_f32_e32 v82, v82, v62
	v_add_f32_e32 v83, v83, v61
	s_waitcnt lgkmcnt(4)
	v_add_f32_e32 v82, v82, v64
	v_add_f32_e32 v83, v83, v63
	v_add_f32_e32 v82, v82, v66
	;; [unrolled: 5-line block ×5, first 2 shown]
	s_waitcnt lgkmcnt(0)
	v_add_f32_e32 v85, v81, v59
	v_sub_f32_e32 v59, v59, v81
	v_add_f32_e32 v83, v83, v77
	v_add_f32_e32 v82, v82, v80
	;; [unrolled: 1-line block ×3, first 2 shown]
	v_sub_f32_e32 v58, v58, v80
	v_mul_f32_e32 v80, 0xbeedf032, v59
	v_mul_f32_e32 v88, 0xbf52af12, v59
	v_mul_f32_e32 v92, 0xbf7e222b, v59
	v_mul_f32_e32 v96, 0xbf6f5d39, v59
	v_mul_f32_e32 v100, 0xbf29c268, v59
	v_mul_f32_e32 v59, 0xbe750f2a, v59
	v_add_f32_e32 v83, v83, v79
	v_mov_b32_e32 v104, v59
	v_add_f32_e32 v83, v83, v81
	v_fma_f32 v81, v84, s14, -v80
	v_fmac_f32_e32 v80, 0x3f62ad3f, v84
	v_mul_f32_e32 v86, 0x3f62ad3f, v85
	v_fma_f32 v89, v84, s13, -v88
	v_fmac_f32_e32 v88, 0x3f116cb1, v84
	v_mul_f32_e32 v90, 0x3f116cb1, v85
	v_fma_f32 v93, v84, s12, -v92
	v_fmac_f32_e32 v92, 0x3df6dbef, v84
	v_mul_f32_e32 v94, 0x3df6dbef, v85
	v_fma_f32 v97, v84, s15, -v96
	v_fmac_f32_e32 v96, 0xbeb58ec6, v84
	v_mul_f32_e32 v98, 0xbeb58ec6, v85
	v_fma_f32 v101, v84, s16, -v100
	v_fmac_f32_e32 v100, 0xbf3f9e67, v84
	v_mul_f32_e32 v102, 0xbf3f9e67, v85
	v_fmac_f32_e32 v104, 0xbf788fa5, v84
	v_mul_f32_e32 v85, 0xbf788fa5, v85
	v_fma_f32 v59, v84, s17, -v59
	v_add_f32_e32 v80, v56, v80
	v_mov_b32_e32 v87, v86
	v_add_f32_e32 v81, v56, v81
	v_add_f32_e32 v88, v56, v88
	v_mov_b32_e32 v91, v90
	v_add_f32_e32 v89, v56, v89
	;; [unrolled: 3-line block ×6, first 2 shown]
	v_add_f32_e32 v59, v79, v61
	v_sub_f32_e32 v61, v61, v79
	v_fmac_f32_e32 v87, 0x3eedf032, v58
	v_fmac_f32_e32 v86, 0xbeedf032, v58
	v_fmac_f32_e32 v91, 0x3f52af12, v58
	v_fmac_f32_e32 v90, 0xbf52af12, v58
	v_fmac_f32_e32 v95, 0x3f7e222b, v58
	v_fmac_f32_e32 v94, 0xbf7e222b, v58
	v_fmac_f32_e32 v99, 0x3f6f5d39, v58
	v_fmac_f32_e32 v98, 0xbf6f5d39, v58
	v_fmac_f32_e32 v103, 0x3f29c268, v58
	v_fmac_f32_e32 v102, 0xbf29c268, v58
	v_fmac_f32_e32 v105, 0x3e750f2a, v58
	v_fmac_f32_e32 v85, 0xbe750f2a, v58
	v_add_f32_e32 v58, v78, v60
	v_sub_f32_e32 v60, v60, v78
	v_mul_f32_e32 v78, 0xbf52af12, v61
	v_fma_f32 v79, v58, s13, -v78
	v_fmac_f32_e32 v78, 0x3f116cb1, v58
	v_add_f32_e32 v78, v78, v80
	v_mul_f32_e32 v80, 0x3f116cb1, v59
	v_add_f32_e32 v86, v57, v86
	v_mov_b32_e32 v84, v80
	v_add_f32_e32 v79, v79, v81
	v_fmac_f32_e32 v80, 0xbf52af12, v60
	v_mul_f32_e32 v81, 0xbf6f5d39, v61
	v_add_f32_e32 v87, v57, v87
	v_add_f32_e32 v91, v57, v91
	;; [unrolled: 1-line block ×11, first 2 shown]
	v_fmac_f32_e32 v84, 0x3f52af12, v60
	v_add_f32_e32 v80, v80, v86
	v_fma_f32 v85, v58, s15, -v81
	v_fmac_f32_e32 v81, 0xbeb58ec6, v58
	v_mul_f32_e32 v86, 0xbeb58ec6, v59
	v_add_f32_e32 v84, v84, v87
	v_add_f32_e32 v81, v81, v88
	v_mov_b32_e32 v87, v86
	v_fmac_f32_e32 v86, 0xbf6f5d39, v60
	v_mul_f32_e32 v88, 0xbe750f2a, v61
	v_fmac_f32_e32 v87, 0x3f6f5d39, v60
	v_add_f32_e32 v85, v85, v89
	v_add_f32_e32 v86, v86, v90
	v_fma_f32 v89, v58, s17, -v88
	v_fmac_f32_e32 v88, 0xbf788fa5, v58
	v_mul_f32_e32 v90, 0xbf788fa5, v59
	v_add_f32_e32 v87, v87, v91
	v_add_f32_e32 v88, v88, v92
	v_mov_b32_e32 v91, v90
	v_fmac_f32_e32 v90, 0xbe750f2a, v60
	v_mul_f32_e32 v92, 0x3f29c268, v61
	v_fmac_f32_e32 v91, 0x3e750f2a, v60
	v_add_f32_e32 v89, v89, v93
	v_add_f32_e32 v90, v90, v94
	v_fma_f32 v93, v58, s16, -v92
	v_fmac_f32_e32 v92, 0xbf3f9e67, v58
	v_mul_f32_e32 v94, 0xbf3f9e67, v59
	v_add_f32_e32 v91, v91, v95
	v_add_f32_e32 v92, v92, v96
	v_mov_b32_e32 v95, v94
	v_fmac_f32_e32 v94, 0x3f29c268, v60
	v_mul_f32_e32 v96, 0x3f7e222b, v61
	v_add_f32_e32 v93, v93, v97
	v_add_f32_e32 v94, v94, v98
	v_fma_f32 v97, v58, s12, -v96
	v_fmac_f32_e32 v96, 0x3df6dbef, v58
	v_mul_f32_e32 v98, 0x3df6dbef, v59
	v_mul_f32_e32 v61, 0x3eedf032, v61
	;; [unrolled: 1-line block ×3, first 2 shown]
	v_fmac_f32_e32 v95, 0xbf29c268, v60
	v_add_f32_e32 v96, v96, v100
	v_add_f32_e32 v97, v97, v101
	v_mov_b32_e32 v100, v61
	v_mov_b32_e32 v101, v59
	v_fmac_f32_e32 v59, 0x3eedf032, v60
	v_add_f32_e32 v95, v95, v99
	v_mov_b32_e32 v99, v98
	v_fmac_f32_e32 v100, 0x3f62ad3f, v58
	v_fma_f32 v58, v58, s14, -v61
	v_add_f32_e32 v57, v59, v57
	v_add_f32_e32 v59, v77, v63
	v_sub_f32_e32 v61, v63, v77
	v_fmac_f32_e32 v99, 0xbf7e222b, v60
	v_fmac_f32_e32 v98, 0x3f7e222b, v60
	;; [unrolled: 1-line block ×3, first 2 shown]
	v_add_f32_e32 v56, v58, v56
	v_add_f32_e32 v58, v76, v62
	v_sub_f32_e32 v60, v62, v76
	v_mul_f32_e32 v62, 0xbf7e222b, v61
	v_mul_f32_e32 v76, 0x3df6dbef, v59
	v_fma_f32 v63, v58, s12, -v62
	v_fmac_f32_e32 v62, 0x3df6dbef, v58
	v_mov_b32_e32 v77, v76
	v_add_f32_e32 v62, v62, v78
	v_fmac_f32_e32 v77, 0x3f7e222b, v60
	v_fmac_f32_e32 v76, 0xbf7e222b, v60
	v_mul_f32_e32 v78, 0xbe750f2a, v61
	v_add_f32_e32 v77, v77, v84
	v_add_f32_e32 v63, v63, v79
	;; [unrolled: 1-line block ×3, first 2 shown]
	v_fma_f32 v79, v58, s17, -v78
	v_fmac_f32_e32 v78, 0xbf788fa5, v58
	v_mul_f32_e32 v80, 0xbf788fa5, v59
	v_mul_f32_e32 v84, 0x3f6f5d39, v61
	v_add_f32_e32 v78, v78, v81
	v_mov_b32_e32 v81, v80
	v_add_f32_e32 v79, v79, v85
	v_fmac_f32_e32 v80, 0xbe750f2a, v60
	v_fma_f32 v85, v58, s15, -v84
	v_fmac_f32_e32 v84, 0xbeb58ec6, v58
	v_fmac_f32_e32 v81, 0x3e750f2a, v60
	v_add_f32_e32 v80, v80, v86
	v_add_f32_e32 v84, v84, v88
	v_mul_f32_e32 v86, 0xbeb58ec6, v59
	v_mul_f32_e32 v88, 0x3eedf032, v61
	v_add_f32_e32 v81, v81, v87
	v_mov_b32_e32 v87, v86
	v_add_f32_e32 v85, v85, v89
	v_fmac_f32_e32 v86, 0x3f6f5d39, v60
	v_fma_f32 v89, v58, s14, -v88
	v_fmac_f32_e32 v88, 0x3f62ad3f, v58
	v_fmac_f32_e32 v87, 0xbf6f5d39, v60
	v_add_f32_e32 v86, v86, v90
	v_add_f32_e32 v88, v88, v92
	v_mul_f32_e32 v90, 0x3f62ad3f, v59
	v_mul_f32_e32 v92, 0xbf52af12, v61
	v_add_f32_e32 v87, v87, v91
	v_mov_b32_e32 v91, v90
	v_add_f32_e32 v89, v89, v93
	v_fmac_f32_e32 v90, 0x3eedf032, v60
	v_fma_f32 v93, v58, s13, -v92
	v_fmac_f32_e32 v92, 0x3f116cb1, v58
	v_mul_f32_e32 v61, 0xbf29c268, v61
	v_fmac_f32_e32 v91, 0xbeedf032, v60
	v_add_f32_e32 v90, v90, v94
	v_add_f32_e32 v92, v92, v96
	v_mul_f32_e32 v94, 0x3f116cb1, v59
	v_mov_b32_e32 v96, v61
	v_mul_f32_e32 v59, 0xbf3f9e67, v59
	v_add_f32_e32 v91, v91, v95
	v_mov_b32_e32 v95, v94
	v_add_f32_e32 v93, v93, v97
	v_fmac_f32_e32 v96, 0xbf3f9e67, v58
	v_mov_b32_e32 v97, v59
	v_fma_f32 v58, v58, s16, -v61
	v_sub_f32_e32 v61, v65, v75
	v_fmac_f32_e32 v95, 0x3f52af12, v60
	v_fmac_f32_e32 v94, 0xbf52af12, v60
	;; [unrolled: 1-line block ×3, first 2 shown]
	v_add_f32_e32 v56, v58, v56
	v_fmac_f32_e32 v59, 0xbf29c268, v60
	v_add_f32_e32 v58, v74, v64
	v_sub_f32_e32 v60, v64, v74
	v_mul_f32_e32 v64, 0xbf6f5d39, v61
	v_add_f32_e32 v57, v59, v57
	v_add_f32_e32 v59, v75, v65
	v_fma_f32 v65, v58, s15, -v64
	v_fmac_f32_e32 v64, 0xbeb58ec6, v58
	v_add_f32_e32 v62, v64, v62
	v_mul_f32_e32 v64, 0xbeb58ec6, v59
	v_add_f32_e32 v63, v65, v63
	v_mul_f32_e32 v65, 0x3f29c268, v61
	v_mov_b32_e32 v74, v64
	v_fmac_f32_e32 v64, 0xbf6f5d39, v60
	v_fma_f32 v75, v58, s16, -v65
	v_fmac_f32_e32 v65, 0xbf3f9e67, v58
	v_fmac_f32_e32 v74, 0x3f6f5d39, v60
	v_add_f32_e32 v64, v64, v76
	v_add_f32_e32 v65, v65, v78
	v_mul_f32_e32 v76, 0xbf3f9e67, v59
	v_mul_f32_e32 v78, 0x3eedf032, v61
	v_add_f32_e32 v74, v74, v77
	v_mov_b32_e32 v77, v76
	v_add_f32_e32 v75, v75, v79
	v_fmac_f32_e32 v76, 0x3f29c268, v60
	v_fma_f32 v79, v58, s14, -v78
	v_fmac_f32_e32 v78, 0x3f62ad3f, v58
	v_fmac_f32_e32 v77, 0xbf29c268, v60
	v_add_f32_e32 v76, v76, v80
	v_add_f32_e32 v78, v78, v84
	v_mul_f32_e32 v80, 0x3f62ad3f, v59
	v_mul_f32_e32 v84, 0xbf7e222b, v61
	v_add_f32_e32 v77, v77, v81
	v_mov_b32_e32 v81, v80
	v_add_f32_e32 v79, v79, v85
	;; [unrolled: 11-line block ×3, first 2 shown]
	v_fmac_f32_e32 v86, 0xbf7e222b, v60
	v_fma_f32 v89, v58, s17, -v88
	v_fmac_f32_e32 v88, 0xbf788fa5, v58
	v_mul_f32_e32 v61, 0x3f52af12, v61
	v_fmac_f32_e32 v87, 0x3f7e222b, v60
	v_add_f32_e32 v86, v86, v90
	v_add_f32_e32 v88, v88, v92
	v_mul_f32_e32 v90, 0xbf788fa5, v59
	v_mov_b32_e32 v92, v61
	v_mul_f32_e32 v59, 0x3f116cb1, v59
	v_add_f32_e32 v87, v87, v91
	v_mov_b32_e32 v91, v90
	v_add_f32_e32 v89, v89, v93
	v_fmac_f32_e32 v92, 0x3f116cb1, v58
	v_mov_b32_e32 v93, v59
	v_fma_f32 v58, v58, s13, -v61
	v_sub_f32_e32 v61, v67, v73
	v_fmac_f32_e32 v91, 0xbe750f2a, v60
	v_fmac_f32_e32 v90, 0x3e750f2a, v60
	;; [unrolled: 1-line block ×3, first 2 shown]
	v_add_f32_e32 v56, v58, v56
	v_fmac_f32_e32 v59, 0x3f52af12, v60
	v_add_f32_e32 v58, v72, v66
	v_sub_f32_e32 v60, v66, v72
	v_mul_f32_e32 v66, 0xbf29c268, v61
	v_add_f32_e32 v57, v59, v57
	v_add_f32_e32 v59, v73, v67
	v_fma_f32 v67, v58, s16, -v66
	v_fmac_f32_e32 v66, 0xbf3f9e67, v58
	v_add_f32_e32 v62, v66, v62
	v_mul_f32_e32 v66, 0xbf3f9e67, v59
	v_mov_b32_e32 v72, v66
	v_fmac_f32_e32 v66, 0xbf29c268, v60
	v_add_f32_e32 v64, v66, v64
	v_mul_f32_e32 v66, 0x3f7e222b, v61
	v_add_f32_e32 v63, v67, v63
	v_fma_f32 v67, v58, s12, -v66
	v_fmac_f32_e32 v66, 0x3df6dbef, v58
	v_fmac_f32_e32 v72, 0x3f29c268, v60
	v_add_f32_e32 v65, v66, v65
	v_mul_f32_e32 v66, 0x3df6dbef, v59
	v_add_f32_e32 v72, v72, v74
	v_mov_b32_e32 v73, v66
	v_fmac_f32_e32 v66, 0x3f7e222b, v60
	v_mul_f32_e32 v74, 0xbf52af12, v61
	v_fmac_f32_e32 v73, 0xbf7e222b, v60
	v_add_f32_e32 v67, v67, v75
	v_add_f32_e32 v66, v66, v76
	v_fma_f32 v75, v58, s13, -v74
	v_fmac_f32_e32 v74, 0x3f116cb1, v58
	v_mul_f32_e32 v76, 0x3f116cb1, v59
	v_add_f32_e32 v73, v73, v77
	v_add_f32_e32 v74, v74, v78
	v_mov_b32_e32 v77, v76
	v_fmac_f32_e32 v76, 0xbf52af12, v60
	v_mul_f32_e32 v78, 0x3e750f2a, v61
	v_fmac_f32_e32 v77, 0x3f52af12, v60
	v_add_f32_e32 v75, v75, v79
	v_add_f32_e32 v76, v76, v80
	v_fma_f32 v79, v58, s17, -v78
	v_fmac_f32_e32 v78, 0xbf788fa5, v58
	v_mul_f32_e32 v80, 0xbf788fa5, v59
	v_add_f32_e32 v77, v77, v81
	v_add_f32_e32 v78, v78, v84
	v_mov_b32_e32 v81, v80
	v_fmac_f32_e32 v80, 0x3e750f2a, v60
	v_mul_f32_e32 v84, 0x3eedf032, v61
	v_add_f32_e32 v99, v99, v103
	v_add_f32_e32 v98, v98, v102
	;; [unrolled: 1-line block ×6, first 2 shown]
	v_fma_f32 v85, v58, s14, -v84
	v_fmac_f32_e32 v84, 0x3f62ad3f, v58
	v_mul_f32_e32 v86, 0x3f62ad3f, v59
	v_mul_f32_e32 v61, 0xbf6f5d39, v61
	;; [unrolled: 1-line block ×3, first 2 shown]
	v_add_f32_e32 v95, v95, v99
	v_add_f32_e32 v94, v94, v98
	;; [unrolled: 1-line block ×4, first 2 shown]
	v_fmac_f32_e32 v81, 0xbe750f2a, v60
	v_add_f32_e32 v84, v84, v88
	v_add_f32_e32 v85, v85, v89
	v_mov_b32_e32 v88, v61
	v_mov_b32_e32 v89, v59
	v_add_f32_e32 v91, v91, v95
	v_add_f32_e32 v90, v90, v94
	;; [unrolled: 1-line block ×5, first 2 shown]
	v_mov_b32_e32 v87, v86
	v_fmac_f32_e32 v86, 0x3eedf032, v60
	v_fmac_f32_e32 v88, 0xbeb58ec6, v58
	;; [unrolled: 1-line block ×3, first 2 shown]
	v_fma_f32 v58, v58, s15, -v61
	v_sub_f32_e32 v95, v69, v71
	v_fmac_f32_e32 v87, 0xbeedf032, v60
	v_add_f32_e32 v86, v86, v90
	v_add_f32_e32 v88, v88, v92
	;; [unrolled: 1-line block ×4, first 2 shown]
	v_fmac_f32_e32 v59, 0xbf6f5d39, v60
	v_add_f32_e32 v92, v70, v68
	v_add_f32_e32 v93, v71, v69
	v_mul_f32_e32 v56, 0xbe750f2a, v95
	v_add_f32_e32 v87, v87, v91
	v_add_f32_e32 v91, v59, v57
	v_sub_f32_e32 v94, v68, v70
	v_fma_f32 v58, v92, s17, -v56
	v_fmac_f32_e32 v56, 0xbf788fa5, v92
	v_mul_f32_e32 v59, 0xbf788fa5, v93
	v_mul_f32_e32 v60, 0x3eedf032, v95
	v_add_f32_e32 v56, v56, v62
	v_mov_b32_e32 v57, v59
	v_add_f32_e32 v58, v58, v63
	v_fmac_f32_e32 v59, 0xbe750f2a, v94
	v_fma_f32 v62, v92, s14, -v60
	v_mul_f32_e32 v63, 0x3f62ad3f, v93
	v_add_f32_e32 v59, v59, v64
	v_fmac_f32_e32 v60, 0x3f62ad3f, v92
	v_mov_b32_e32 v61, v63
	v_add_f32_e32 v62, v62, v67
	v_fmac_f32_e32 v63, 0x3eedf032, v94
	v_mul_f32_e32 v64, 0xbf29c268, v95
	v_mul_f32_e32 v67, 0xbf3f9e67, v93
	;; [unrolled: 1-line block ×3, first 2 shown]
	v_add_f32_e32 v60, v60, v65
	v_add_f32_e32 v63, v63, v66
	v_fma_f32 v66, v92, s16, -v64
	v_mov_b32_e32 v65, v67
	v_fma_f32 v70, v92, s13, -v68
	v_fmac_f32_e32 v68, 0x3f116cb1, v92
	v_fmac_f32_e32 v57, 0x3e750f2a, v94
	;; [unrolled: 1-line block ×4, first 2 shown]
	v_add_f32_e32 v66, v66, v75
	v_fmac_f32_e32 v67, 0xbf29c268, v94
	v_add_f32_e32 v68, v68, v78
	v_mul_f32_e32 v71, 0x3f116cb1, v93
	v_add_f32_e32 v70, v70, v79
	v_mul_f32_e32 v75, 0xbeb58ec6, v93
	v_mul_f32_e32 v78, 0x3f7e222b, v95
	v_mul_f32_e32 v79, 0x3df6dbef, v93
	v_add_f32_e32 v57, v57, v72
	v_add_f32_e32 v61, v61, v73
	v_fmac_f32_e32 v64, 0xbf3f9e67, v92
	v_add_f32_e32 v65, v65, v77
	v_add_f32_e32 v67, v67, v76
	v_mov_b32_e32 v69, v71
	v_mul_f32_e32 v72, 0xbf6f5d39, v95
	v_mov_b32_e32 v73, v75
	v_mov_b32_e32 v76, v78
	;; [unrolled: 1-line block ×3, first 2 shown]
	v_add_f32_e32 v64, v64, v74
	v_fmac_f32_e32 v69, 0xbf52af12, v94
	v_fmac_f32_e32 v71, 0x3f52af12, v94
	v_fma_f32 v74, v92, s15, -v72
	v_fmac_f32_e32 v72, 0xbeb58ec6, v92
	v_fmac_f32_e32 v73, 0x3f6f5d39, v94
	;; [unrolled: 1-line block ×5, first 2 shown]
	v_fma_f32 v78, v92, s12, -v78
	v_fmac_f32_e32 v79, 0x3f7e222b, v94
	v_add_f32_e32 v69, v69, v81
	v_add_f32_e32 v71, v71, v80
	;; [unrolled: 1-line block ×10, first 2 shown]
	s_barrier
	ds_write2_b64 v55, v[82:83], v[56:57] offset1:1
	ds_write2_b64 v55, v[60:61], v[64:65] offset0:2 offset1:3
	ds_write2_b64 v55, v[68:69], v[72:73] offset0:4 offset1:5
	;; [unrolled: 1-line block ×5, first 2 shown]
	ds_write_b64 v55, v[58:59] offset:96
	s_waitcnt lgkmcnt(0)
	s_barrier
	ds_read2_b64 v[55:58], v53 offset1:13
	ds_read2_b64 v[59:62], v53 offset0:26 offset1:39
	ds_read2_b64 v[63:66], v53 offset0:52 offset1:65
	;; [unrolled: 1-line block ×5, first 2 shown]
	ds_read_b64 v[79:80], v53 offset:1248
	s_waitcnt lgkmcnt(6)
	v_mul_f32_e32 v81, v17, v58
	v_mul_f32_e32 v17, v17, v57
	v_fmac_f32_e32 v81, v16, v57
	v_fma_f32 v16, v16, v58, -v17
	s_waitcnt lgkmcnt(5)
	v_mul_f32_e32 v17, v19, v60
	v_mul_f32_e32 v19, v19, v59
	v_fmac_f32_e32 v17, v18, v59
	v_fma_f32 v18, v18, v60, -v19
	v_mul_f32_e32 v19, v9, v62
	v_mul_f32_e32 v9, v9, v61
	v_fmac_f32_e32 v19, v8, v61
	v_fma_f32 v8, v8, v62, -v9
	s_waitcnt lgkmcnt(4)
	v_mul_f32_e32 v9, v11, v64
	v_mul_f32_e32 v11, v11, v63
	v_fmac_f32_e32 v9, v10, v63
	v_fma_f32 v10, v10, v64, -v11
	;; [unrolled: 9-line block ×3, first 2 shown]
	v_mul_f32_e32 v7, v1, v70
	v_mul_f32_e32 v1, v1, v69
	v_fmac_f32_e32 v7, v0, v69
	v_fma_f32 v57, v0, v70, -v1
	s_waitcnt lgkmcnt(2)
	v_mul_f32_e32 v58, v3, v72
	v_mul_f32_e32 v0, v3, v71
	v_add_f32_e32 v1, v56, v16
	v_fmac_f32_e32 v58, v2, v71
	v_fma_f32 v2, v2, v72, -v0
	v_mul_f32_e32 v3, v21, v74
	v_mul_f32_e32 v0, v21, v73
	v_add_f32_e32 v1, v1, v18
	v_fmac_f32_e32 v3, v20, v73
	v_fma_f32 v20, v20, v74, -v0
	s_waitcnt lgkmcnt(1)
	v_mul_f32_e32 v21, v23, v76
	v_mul_f32_e32 v0, v23, v75
	v_add_f32_e32 v1, v1, v8
	v_fmac_f32_e32 v21, v22, v75
	v_fma_f32 v22, v22, v76, -v0
	v_mul_f32_e32 v23, v13, v78
	v_mul_f32_e32 v0, v13, v77
	v_add_f32_e32 v1, v1, v10
	v_fmac_f32_e32 v23, v12, v77
	v_fma_f32 v12, v12, v78, -v0
	s_waitcnt lgkmcnt(0)
	v_mul_f32_e32 v13, v15, v80
	v_mul_f32_e32 v0, v15, v79
	v_add_f32_e32 v1, v1, v4
	v_fmac_f32_e32 v13, v14, v79
	v_fma_f32 v14, v14, v80, -v0
	v_add_f32_e32 v0, v55, v81
	v_add_f32_e32 v1, v1, v6
	;; [unrolled: 1-line block ×15, first 2 shown]
	v_sub_f32_e32 v14, v16, v14
	v_add_f32_e32 v0, v0, v58
	v_mul_f32_e32 v16, 0xbeedf032, v14
	v_mul_f32_e32 v63, 0xbf52af12, v14
	v_mul_f32_e32 v67, 0xbf7e222b, v14
	v_mul_f32_e32 v71, 0xbf6f5d39, v14
	v_mul_f32_e32 v75, 0xbf29c268, v14
	v_mul_f32_e32 v14, 0xbe750f2a, v14
	v_add_f32_e32 v0, v0, v3
	v_add_f32_e32 v15, v81, v13
	v_mov_b32_e32 v79, v14
	v_add_f32_e32 v0, v0, v21
	v_fma_f32 v60, v15, s14, -v16
	v_fmac_f32_e32 v16, 0x3f62ad3f, v15
	v_fma_f32 v64, v15, s13, -v63
	v_fmac_f32_e32 v63, 0x3f116cb1, v15
	;; [unrolled: 2-line block ×5, first 2 shown]
	v_fmac_f32_e32 v79, 0xbf788fa5, v15
	v_fma_f32 v14, v15, s17, -v14
	v_add_f32_e32 v0, v0, v23
	v_add_f32_e32 v16, v55, v16
	;; [unrolled: 1-line block ×14, first 2 shown]
	v_sub_f32_e32 v12, v18, v12
	v_add_f32_e32 v0, v0, v13
	v_sub_f32_e32 v13, v81, v13
	v_mul_f32_e32 v61, 0x3f62ad3f, v59
	v_mul_f32_e32 v65, 0x3f116cb1, v59
	;; [unrolled: 1-line block ×6, first 2 shown]
	v_add_f32_e32 v15, v17, v23
	v_mul_f32_e32 v18, 0xbf52af12, v12
	v_mov_b32_e32 v62, v61
	v_mov_b32_e32 v66, v65
	;; [unrolled: 1-line block ×6, first 2 shown]
	v_fmac_f32_e32 v59, 0xbe750f2a, v13
	v_sub_f32_e32 v17, v17, v23
	v_fma_f32 v23, v15, s13, -v18
	v_fmac_f32_e32 v18, 0x3f116cb1, v15
	v_fmac_f32_e32 v62, 0x3eedf032, v13
	;; [unrolled: 1-line block ×12, first 2 shown]
	v_add_f32_e32 v13, v56, v59
	v_add_f32_e32 v16, v18, v16
	v_mul_f32_e32 v18, 0x3f116cb1, v55
	v_mul_f32_e32 v59, 0xbf6f5d39, v12
	v_add_f32_e32 v62, v56, v62
	v_add_f32_e32 v61, v56, v61
	;; [unrolled: 1-line block ×11, first 2 shown]
	v_mov_b32_e32 v56, v18
	v_add_f32_e32 v23, v23, v60
	v_fmac_f32_e32 v18, 0xbf52af12, v17
	v_fma_f32 v60, v15, s15, -v59
	v_fmac_f32_e32 v59, 0xbeb58ec6, v15
	v_fmac_f32_e32 v56, 0x3f52af12, v17
	v_add_f32_e32 v18, v18, v61
	v_add_f32_e32 v59, v59, v63
	v_mul_f32_e32 v61, 0xbeb58ec6, v55
	v_mul_f32_e32 v63, 0xbe750f2a, v12
	v_add_f32_e32 v56, v56, v62
	v_mov_b32_e32 v62, v61
	v_add_f32_e32 v60, v60, v64
	v_fmac_f32_e32 v61, 0xbf6f5d39, v17
	v_fma_f32 v64, v15, s17, -v63
	v_fmac_f32_e32 v63, 0xbf788fa5, v15
	v_fmac_f32_e32 v62, 0x3f6f5d39, v17
	v_add_f32_e32 v61, v61, v65
	v_add_f32_e32 v63, v63, v67
	v_mul_f32_e32 v65, 0xbf788fa5, v55
	v_mul_f32_e32 v67, 0x3f29c268, v12
	v_add_f32_e32 v62, v62, v66
	;; [unrolled: 11-line block ×3, first 2 shown]
	v_mov_b32_e32 v70, v69
	v_add_f32_e32 v68, v68, v72
	v_fmac_f32_e32 v69, 0x3f29c268, v17
	v_fma_f32 v72, v15, s12, -v71
	v_fmac_f32_e32 v71, 0x3df6dbef, v15
	v_mul_f32_e32 v12, 0x3eedf032, v12
	v_fmac_f32_e32 v70, 0xbf29c268, v17
	v_add_f32_e32 v69, v69, v73
	v_add_f32_e32 v71, v71, v75
	v_mul_f32_e32 v73, 0x3df6dbef, v55
	v_mov_b32_e32 v75, v12
	v_mul_f32_e32 v55, 0x3f62ad3f, v55
	v_add_f32_e32 v70, v70, v74
	v_mov_b32_e32 v74, v73
	v_add_f32_e32 v72, v72, v76
	v_fmac_f32_e32 v75, 0x3f62ad3f, v15
	v_mov_b32_e32 v76, v55
	v_fma_f32 v12, v15, s14, -v12
	v_add_f32_e32 v15, v8, v22
	v_sub_f32_e32 v8, v8, v22
	v_fmac_f32_e32 v74, 0xbf7e222b, v17
	v_fmac_f32_e32 v73, 0x3f7e222b, v17
	;; [unrolled: 1-line block ×3, first 2 shown]
	v_add_f32_e32 v12, v12, v14
	v_fmac_f32_e32 v55, 0x3eedf032, v17
	v_add_f32_e32 v14, v19, v21
	v_sub_f32_e32 v17, v19, v21
	v_mul_f32_e32 v19, 0xbf7e222b, v8
	v_fma_f32 v21, v14, s12, -v19
	v_fmac_f32_e32 v19, 0x3df6dbef, v14
	v_add_f32_e32 v16, v19, v16
	v_mul_f32_e32 v19, 0x3df6dbef, v15
	v_mov_b32_e32 v22, v19
	v_fmac_f32_e32 v19, 0xbf7e222b, v17
	v_add_f32_e32 v18, v19, v18
	v_mul_f32_e32 v19, 0xbe750f2a, v8
	v_add_f32_e32 v13, v55, v13
	v_fmac_f32_e32 v22, 0x3f7e222b, v17
	v_add_f32_e32 v21, v21, v23
	v_fma_f32 v23, v14, s17, -v19
	v_fmac_f32_e32 v19, 0xbf788fa5, v14
	v_mul_f32_e32 v55, 0xbf788fa5, v15
	v_add_f32_e32 v22, v22, v56
	v_add_f32_e32 v19, v19, v59
	v_mov_b32_e32 v56, v55
	v_fmac_f32_e32 v55, 0xbe750f2a, v17
	v_mul_f32_e32 v59, 0x3f6f5d39, v8
	v_fmac_f32_e32 v56, 0x3e750f2a, v17
	v_add_f32_e32 v23, v23, v60
	v_add_f32_e32 v55, v55, v61
	v_fma_f32 v60, v14, s15, -v59
	v_fmac_f32_e32 v59, 0xbeb58ec6, v14
	v_mul_f32_e32 v61, 0xbeb58ec6, v15
	v_add_f32_e32 v56, v56, v62
	v_add_f32_e32 v59, v59, v63
	v_mov_b32_e32 v62, v61
	v_fmac_f32_e32 v61, 0x3f6f5d39, v17
	v_mul_f32_e32 v63, 0x3eedf032, v8
	v_fmac_f32_e32 v62, 0xbf6f5d39, v17
	v_add_f32_e32 v60, v60, v64
	v_add_f32_e32 v61, v61, v65
	v_fma_f32 v64, v14, s14, -v63
	v_fmac_f32_e32 v63, 0x3f62ad3f, v14
	v_mul_f32_e32 v65, 0x3f62ad3f, v15
	v_add_f32_e32 v62, v62, v66
	v_add_f32_e32 v63, v63, v67
	v_mov_b32_e32 v66, v65
	v_fmac_f32_e32 v65, 0x3eedf032, v17
	v_mul_f32_e32 v67, 0xbf52af12, v8
	v_add_f32_e32 v64, v64, v68
	v_add_f32_e32 v65, v65, v69
	v_fma_f32 v68, v14, s13, -v67
	v_fmac_f32_e32 v67, 0x3f116cb1, v14
	v_mul_f32_e32 v69, 0x3f116cb1, v15
	v_mul_f32_e32 v8, 0xbf29c268, v8
	;; [unrolled: 1-line block ×3, first 2 shown]
	v_add_f32_e32 v67, v67, v71
	v_add_f32_e32 v68, v68, v72
	v_mov_b32_e32 v71, v8
	v_mov_b32_e32 v72, v15
	v_fma_f32 v8, v14, s16, -v8
	v_fmac_f32_e32 v15, 0xbf29c268, v17
	v_add_f32_e32 v8, v8, v12
	v_add_f32_e32 v12, v15, v13
	;; [unrolled: 1-line block ×3, first 2 shown]
	v_sub_f32_e32 v3, v9, v3
	v_sub_f32_e32 v9, v10, v20
	v_fmac_f32_e32 v71, 0xbf3f9e67, v14
	v_add_f32_e32 v14, v10, v20
	v_mul_f32_e32 v10, 0xbf6f5d39, v9
	v_fmac_f32_e32 v66, 0xbeedf032, v17
	v_fma_f32 v15, v13, s15, -v10
	v_fmac_f32_e32 v10, 0xbeb58ec6, v13
	v_add_f32_e32 v66, v66, v70
	v_mov_b32_e32 v70, v69
	v_add_f32_e32 v10, v10, v16
	v_mul_f32_e32 v16, 0xbeb58ec6, v14
	v_fmac_f32_e32 v70, 0x3f52af12, v17
	v_fmac_f32_e32 v69, 0xbf52af12, v17
	;; [unrolled: 1-line block ×3, first 2 shown]
	v_mov_b32_e32 v17, v16
	v_fmac_f32_e32 v16, 0xbf6f5d39, v3
	v_add_f32_e32 v16, v16, v18
	v_mul_f32_e32 v18, 0x3f29c268, v9
	v_fma_f32 v20, v13, s16, -v18
	v_fmac_f32_e32 v18, 0xbf3f9e67, v13
	v_fmac_f32_e32 v17, 0x3f6f5d39, v3
	v_add_f32_e32 v18, v18, v19
	v_mul_f32_e32 v19, 0xbf3f9e67, v14
	v_add_f32_e32 v17, v17, v22
	v_add_f32_e32 v15, v15, v21
	v_mov_b32_e32 v21, v19
	v_fmac_f32_e32 v19, 0x3f29c268, v3
	v_mul_f32_e32 v22, 0x3eedf032, v9
	v_fmac_f32_e32 v21, 0xbf29c268, v3
	v_add_f32_e32 v20, v20, v23
	v_add_f32_e32 v19, v19, v55
	v_fma_f32 v23, v13, s14, -v22
	v_fmac_f32_e32 v22, 0x3f62ad3f, v13
	v_mul_f32_e32 v55, 0x3f62ad3f, v14
	v_add_f32_e32 v21, v21, v56
	v_add_f32_e32 v22, v22, v59
	v_mov_b32_e32 v56, v55
	v_fmac_f32_e32 v55, 0x3eedf032, v3
	v_mul_f32_e32 v59, 0xbf7e222b, v9
	v_fmac_f32_e32 v56, 0xbeedf032, v3
	v_add_f32_e32 v23, v23, v60
	v_add_f32_e32 v55, v55, v61
	v_fma_f32 v60, v13, s12, -v59
	v_fmac_f32_e32 v59, 0x3df6dbef, v13
	v_mul_f32_e32 v61, 0x3df6dbef, v14
	v_add_f32_e32 v56, v56, v62
	v_add_f32_e32 v59, v59, v63
	v_mov_b32_e32 v62, v61
	v_fmac_f32_e32 v61, 0xbf7e222b, v3
	v_mul_f32_e32 v63, 0x3e750f2a, v9
	v_fmac_f32_e32 v62, 0x3f7e222b, v3
	v_add_f32_e32 v60, v60, v64
	v_add_f32_e32 v61, v61, v65
	v_fma_f32 v64, v13, s17, -v63
	v_mul_f32_e32 v65, 0xbf788fa5, v14
	v_mul_f32_e32 v14, 0x3f116cb1, v14
	v_add_f32_e32 v62, v62, v66
	v_fmac_f32_e32 v63, 0xbf788fa5, v13
	v_mov_b32_e32 v66, v65
	v_add_f32_e32 v64, v64, v68
	v_mul_f32_e32 v9, 0x3f52af12, v9
	v_mov_b32_e32 v68, v14
	v_fmac_f32_e32 v14, 0x3f52af12, v3
	v_add_f32_e32 v63, v63, v67
	v_fmac_f32_e32 v66, 0xbe750f2a, v3
	v_fmac_f32_e32 v65, 0x3e750f2a, v3
	v_mov_b32_e32 v67, v9
	v_fmac_f32_e32 v68, 0xbf52af12, v3
	v_fma_f32 v9, v13, s13, -v9
	v_add_f32_e32 v3, v14, v12
	v_add_f32_e32 v12, v4, v2
	v_sub_f32_e32 v2, v4, v2
	v_add_f32_e32 v8, v9, v8
	v_add_f32_e32 v9, v11, v58
	v_mul_f32_e32 v4, 0xbf29c268, v2
	v_fmac_f32_e32 v67, 0x3f116cb1, v13
	v_fma_f32 v13, v9, s16, -v4
	v_fmac_f32_e32 v4, 0xbf3f9e67, v9
	v_add_f32_e32 v4, v4, v10
	v_mul_f32_e32 v10, 0xbf3f9e67, v12
	v_sub_f32_e32 v11, v11, v58
	v_mov_b32_e32 v14, v10
	v_fmac_f32_e32 v14, 0x3f29c268, v11
	v_add_f32_e32 v13, v13, v15
	v_fmac_f32_e32 v10, 0xbf29c268, v11
	v_mul_f32_e32 v15, 0x3f7e222b, v2
	v_add_f32_e32 v14, v14, v17
	v_add_f32_e32 v10, v10, v16
	v_fma_f32 v16, v9, s12, -v15
	v_fmac_f32_e32 v15, 0x3df6dbef, v9
	v_mul_f32_e32 v17, 0x3df6dbef, v12
	v_add_f32_e32 v15, v15, v18
	v_mov_b32_e32 v18, v17
	v_fmac_f32_e32 v17, 0x3f7e222b, v11
	v_fmac_f32_e32 v18, 0xbf7e222b, v11
	v_add_f32_e32 v17, v17, v19
	v_mul_f32_e32 v19, 0xbf52af12, v2
	v_add_f32_e32 v18, v18, v21
	v_add_f32_e32 v16, v16, v20
	v_fma_f32 v20, v9, s13, -v19
	v_fmac_f32_e32 v19, 0x3f116cb1, v9
	v_mul_f32_e32 v21, 0x3f116cb1, v12
	v_add_f32_e32 v19, v19, v22
	v_mov_b32_e32 v22, v21
	v_fmac_f32_e32 v22, 0x3f52af12, v11
	v_add_f32_e32 v20, v20, v23
	v_fmac_f32_e32 v21, 0xbf52af12, v11
	v_mul_f32_e32 v23, 0x3e750f2a, v2
	v_add_f32_e32 v22, v22, v56
	v_add_f32_e32 v21, v21, v55
	v_fma_f32 v55, v9, s17, -v23
	v_fmac_f32_e32 v23, 0xbf788fa5, v9
	v_mul_f32_e32 v56, 0xbf788fa5, v12
	v_add_f32_e32 v23, v23, v59
	v_mov_b32_e32 v58, v56
	v_fmac_f32_e32 v56, 0x3e750f2a, v11
	v_mul_f32_e32 v59, 0x3eedf032, v2
	v_add_f32_e32 v76, v76, v80
	v_add_f32_e32 v55, v55, v60
	;; [unrolled: 1-line block ×3, first 2 shown]
	v_fma_f32 v60, v9, s14, -v59
	v_mul_f32_e32 v61, 0x3f62ad3f, v12
	v_mul_f32_e32 v12, 0xbeb58ec6, v12
	v_add_f32_e32 v73, v73, v77
	v_add_f32_e32 v75, v75, v79
	;; [unrolled: 1-line block ×3, first 2 shown]
	v_fmac_f32_e32 v59, 0x3f62ad3f, v9
	v_add_f32_e32 v60, v60, v64
	v_mul_f32_e32 v2, 0xbf6f5d39, v2
	v_mov_b32_e32 v64, v12
	v_add_f32_e32 v74, v74, v78
	v_add_f32_e32 v69, v69, v73
	;; [unrolled: 1-line block ×4, first 2 shown]
	v_fmac_f32_e32 v58, 0xbe750f2a, v11
	v_add_f32_e32 v59, v59, v63
	v_mov_b32_e32 v63, v2
	v_fmac_f32_e32 v64, 0x3f6f5d39, v11
	v_add_f32_e32 v70, v70, v74
	v_add_f32_e32 v65, v65, v69
	v_add_f32_e32 v67, v67, v71
	v_add_f32_e32 v58, v58, v62
	v_mov_b32_e32 v62, v61
	v_fmac_f32_e32 v61, 0x3eedf032, v11
	v_fmac_f32_e32 v63, 0xbeb58ec6, v9
	v_add_f32_e32 v64, v64, v68
	v_fma_f32 v2, v9, s15, -v2
	v_add_f32_e32 v68, v6, v57
	v_sub_f32_e32 v57, v6, v57
	v_add_f32_e32 v66, v66, v70
	v_fmac_f32_e32 v62, 0xbeedf032, v11
	v_add_f32_e32 v61, v61, v65
	v_add_f32_e32 v63, v63, v67
	;; [unrolled: 1-line block ×3, first 2 shown]
	v_fmac_f32_e32 v12, 0xbf6f5d39, v11
	v_add_f32_e32 v67, v5, v7
	v_sub_f32_e32 v69, v5, v7
	v_mul_f32_e32 v2, 0xbe750f2a, v57
	v_mul_f32_e32 v6, 0xbf788fa5, v68
	v_add_f32_e32 v62, v62, v66
	v_add_f32_e32 v66, v12, v3
	v_fma_f32 v5, v67, s17, -v2
	v_fmac_f32_e32 v2, 0xbf788fa5, v67
	v_mov_b32_e32 v3, v6
	v_fmac_f32_e32 v6, 0xbe750f2a, v69
	v_mul_f32_e32 v9, 0x3f62ad3f, v68
	v_add_f32_e32 v2, v2, v4
	v_fmac_f32_e32 v3, 0x3e750f2a, v69
	v_add_f32_e32 v4, v5, v13
	v_add_f32_e32 v5, v6, v10
	v_mul_f32_e32 v6, 0x3eedf032, v57
	v_mov_b32_e32 v7, v9
	v_fmac_f32_e32 v9, 0x3eedf032, v69
	v_add_f32_e32 v3, v3, v14
	v_fma_f32 v8, v67, s14, -v6
	v_fmac_f32_e32 v6, 0x3f62ad3f, v67
	v_add_f32_e32 v9, v9, v17
	v_mul_f32_e32 v13, 0xbf3f9e67, v68
	v_mul_f32_e32 v14, 0x3f52af12, v57
	;; [unrolled: 1-line block ×3, first 2 shown]
	v_add_f32_e32 v6, v6, v15
	v_add_f32_e32 v8, v8, v16
	v_mul_f32_e32 v10, 0xbf29c268, v57
	v_mov_b32_e32 v11, v13
	v_fmac_f32_e32 v13, 0xbf29c268, v69
	v_fma_f32 v16, v67, s13, -v14
	v_mov_b32_e32 v15, v17
	v_fmac_f32_e32 v17, 0x3f52af12, v69
	v_fmac_f32_e32 v7, 0xbeedf032, v69
	v_fma_f32 v12, v67, s16, -v10
	v_fmac_f32_e32 v10, 0xbf3f9e67, v67
	v_fmac_f32_e32 v11, 0x3f29c268, v69
	v_add_f32_e32 v13, v13, v21
	v_fmac_f32_e32 v14, 0x3f116cb1, v67
	v_add_f32_e32 v16, v16, v55
	v_add_f32_e32 v17, v17, v56
	v_mul_f32_e32 v21, 0xbeb58ec6, v68
	v_mul_f32_e32 v55, 0x3f7e222b, v57
	;; [unrolled: 1-line block ×3, first 2 shown]
	v_add_f32_e32 v7, v7, v18
	v_add_f32_e32 v10, v10, v19
	;; [unrolled: 1-line block ×4, first 2 shown]
	v_mul_f32_e32 v18, 0xbf6f5d39, v57
	v_mov_b32_e32 v19, v21
	v_mov_b32_e32 v22, v55
	;; [unrolled: 1-line block ×3, first 2 shown]
	v_add_f32_e32 v12, v12, v20
	v_fmac_f32_e32 v15, 0xbf52af12, v69
	v_fma_f32 v20, v67, s15, -v18
	v_fmac_f32_e32 v18, 0xbeb58ec6, v67
	v_fmac_f32_e32 v19, 0x3f6f5d39, v69
	;; [unrolled: 1-line block ×5, first 2 shown]
	v_fma_f32 v55, v67, s12, -v55
	v_fmac_f32_e32 v56, 0x3f7e222b, v69
	v_add_f32_e32 v15, v15, v58
	v_add_f32_e32 v18, v18, v59
	;; [unrolled: 1-line block ×9, first 2 shown]
	ds_write2_b64 v53, v[0:1], v[2:3] offset1:13
	ds_write2_b64 v53, v[6:7], v[10:11] offset0:26 offset1:39
	ds_write2_b64 v53, v[14:15], v[18:19] offset0:52 offset1:65
	;; [unrolled: 1-line block ×5, first 2 shown]
	ds_write_b64 v53, v[4:5] offset:1248
	s_waitcnt lgkmcnt(0)
	s_barrier
	ds_read2_b64 v[0:3], v53 offset1:13
	v_mad_u64_u32 v[7:8], s[8:9], s0, v54, 0
	v_mov_b32_e32 v4, v52
	s_waitcnt lgkmcnt(0)
	v_mul_f32_e32 v5, v50, v1
	v_fmac_f32_e32 v5, v49, v0
	v_cvt_f64_f32_e32 v[5:6], v5
	v_mul_f32_e32 v0, v50, v0
	v_fma_f32 v0, v49, v1, -v0
	v_cvt_f64_f32_e32 v[0:1], v0
	v_mul_f64 v[5:6], v[5:6], s[4:5]
	v_mul_f64 v[0:1], v[0:1], s[4:5]
	v_mad_u64_u32 v[9:10], s[2:3], s3, v34, v[4:5]
	v_mov_b32_e32 v4, v8
	v_mad_u64_u32 v[10:11], s[2:3], s1, v54, v[4:5]
	v_mov_b32_e32 v52, v9
	v_mul_f32_e32 v9, v48, v3
	v_fmac_f32_e32 v9, v47, v2
	v_mov_b32_e32 v8, v10
	v_cvt_f64_f32_e32 v[9:10], v9
	v_cvt_f32_f64_e32 v4, v[5:6]
	v_cvt_f32_f64_e32 v5, v[0:1]
	v_lshlrev_b64 v[0:1], 3, v[51:52]
	v_mul_f32_e32 v2, v48, v2
	v_fma_f32 v2, v47, v3, -v2
	v_mov_b32_e32 v6, s7
	v_cvt_f64_f32_e32 v[2:3], v2
	v_add_co_u32_e32 v11, vcc, s6, v0
	v_addc_co_u32_e32 v12, vcc, v6, v1, vcc
	v_lshlrev_b64 v[0:1], 3, v[7:8]
	v_mul_f64 v[6:7], v[9:10], s[4:5]
	v_add_co_u32_e32 v10, vcc, v11, v0
	v_mul_f64 v[8:9], v[2:3], s[4:5]
	v_addc_co_u32_e32 v11, vcc, v12, v1, vcc
	ds_read2_b64 v[0:3], v53 offset0:26 offset1:39
	global_store_dwordx2 v[10:11], v[4:5], off
	v_cvt_f32_f64_e32 v4, v[6:7]
	s_mulk_i32 s1, 0x68
	s_mul_hi_u32 s2, s0, 0x68
	s_waitcnt lgkmcnt(0)
	v_mul_f32_e32 v6, v44, v1
	v_fmac_f32_e32 v6, v43, v0
	v_mul_f32_e32 v0, v44, v0
	v_fma_f32 v0, v43, v1, -v0
	v_cvt_f64_f32_e32 v[0:1], v0
	v_cvt_f64_f32_e32 v[6:7], v6
	v_cvt_f32_f64_e32 v5, v[8:9]
	s_add_i32 s1, s2, s1
	v_mul_f64 v[0:1], v[0:1], s[4:5]
	v_mul_f64 v[6:7], v[6:7], s[4:5]
	s_mulk_i32 s0, 0x68
	v_mov_b32_e32 v9, s1
	v_add_co_u32_e32 v8, vcc, s0, v10
	v_addc_co_u32_e32 v9, vcc, v11, v9, vcc
	global_store_dwordx2 v[8:9], v[4:5], off
	v_cvt_f32_f64_e32 v5, v[0:1]
	v_mul_f32_e32 v0, v40, v3
	v_fmac_f32_e32 v0, v39, v2
	v_cvt_f32_f64_e32 v4, v[6:7]
	v_cvt_f64_f32_e32 v[6:7], v0
	v_mul_f32_e32 v0, v40, v2
	v_fma_f32 v0, v39, v3, -v0
	v_cvt_f64_f32_e32 v[10:11], v0
	ds_read2_b64 v[0:3], v53 offset0:52 offset1:65
	v_mov_b32_e32 v12, s1
	v_add_co_u32_e32 v8, vcc, s0, v8
	v_addc_co_u32_e32 v9, vcc, v9, v12, vcc
	global_store_dwordx2 v[8:9], v[4:5], off
	v_mul_f64 v[4:5], v[6:7], s[4:5]
	v_mul_f64 v[6:7], v[10:11], s[4:5]
	s_waitcnt lgkmcnt(0)
	v_mul_f32_e32 v10, v46, v1
	v_fmac_f32_e32 v10, v45, v0
	v_mul_f32_e32 v0, v46, v0
	v_fma_f32 v0, v45, v1, -v0
	v_cvt_f64_f32_e32 v[0:1], v0
	v_cvt_f64_f32_e32 v[10:11], v10
	v_cvt_f32_f64_e32 v4, v[4:5]
	v_cvt_f32_f64_e32 v5, v[6:7]
	v_mul_f64 v[0:1], v[0:1], s[4:5]
	v_mul_f64 v[6:7], v[10:11], s[4:5]
	v_mov_b32_e32 v10, s1
	v_add_co_u32_e32 v8, vcc, s0, v8
	v_addc_co_u32_e32 v9, vcc, v9, v10, vcc
	global_store_dwordx2 v[8:9], v[4:5], off
	v_cvt_f32_f64_e32 v5, v[0:1]
	v_mul_f32_e32 v0, v42, v3
	v_fmac_f32_e32 v0, v41, v2
	v_cvt_f32_f64_e32 v4, v[6:7]
	v_cvt_f64_f32_e32 v[6:7], v0
	v_mul_f32_e32 v0, v42, v2
	v_fma_f32 v0, v41, v3, -v0
	v_cvt_f64_f32_e32 v[10:11], v0
	ds_read2_b64 v[0:3], v53 offset0:78 offset1:91
	v_add_co_u32_e32 v8, vcc, s0, v8
	v_addc_co_u32_e32 v9, vcc, v9, v12, vcc
	global_store_dwordx2 v[8:9], v[4:5], off
	v_mul_f64 v[4:5], v[6:7], s[4:5]
	v_mul_f64 v[6:7], v[10:11], s[4:5]
	s_waitcnt lgkmcnt(0)
	v_mul_f32_e32 v10, v38, v1
	v_fmac_f32_e32 v10, v37, v0
	v_mul_f32_e32 v0, v38, v0
	v_fma_f32 v0, v37, v1, -v0
	v_cvt_f64_f32_e32 v[0:1], v0
	v_cvt_f64_f32_e32 v[10:11], v10
	v_cvt_f32_f64_e32 v4, v[4:5]
	v_cvt_f32_f64_e32 v5, v[6:7]
	v_mul_f64 v[0:1], v[0:1], s[4:5]
	v_mul_f64 v[6:7], v[10:11], s[4:5]
	v_mov_b32_e32 v10, s1
	v_add_co_u32_e32 v8, vcc, s0, v8
	v_addc_co_u32_e32 v9, vcc, v9, v10, vcc
	global_store_dwordx2 v[8:9], v[4:5], off
	v_cvt_f32_f64_e32 v5, v[0:1]
	v_mul_f32_e32 v0, v33, v3
	v_fmac_f32_e32 v0, v32, v2
	v_cvt_f32_f64_e32 v4, v[6:7]
	v_cvt_f64_f32_e32 v[6:7], v0
	v_mul_f32_e32 v0, v33, v2
	v_fma_f32 v0, v32, v3, -v0
	v_cvt_f64_f32_e32 v[10:11], v0
	ds_read2_b64 v[0:3], v53 offset0:104 offset1:117
	;; [unrolled: 29-line block ×3, first 2 shown]
	v_add_co_u32_e32 v8, vcc, s0, v8
	v_addc_co_u32_e32 v9, vcc, v9, v12, vcc
	global_store_dwordx2 v[8:9], v[4:5], off
	v_mul_f64 v[4:5], v[6:7], s[4:5]
	v_mul_f64 v[6:7], v[10:11], s[4:5]
	s_waitcnt lgkmcnt(0)
	v_mul_f32_e32 v10, v31, v1
	v_fmac_f32_e32 v10, v30, v0
	v_mul_f32_e32 v0, v31, v0
	v_fma_f32 v0, v30, v1, -v0
	v_cvt_f64_f32_e32 v[0:1], v0
	v_cvt_f64_f32_e32 v[10:11], v10
	v_cvt_f32_f64_e32 v4, v[4:5]
	v_cvt_f32_f64_e32 v5, v[6:7]
	v_mul_f64 v[0:1], v[0:1], s[4:5]
	v_mul_f64 v[6:7], v[10:11], s[4:5]
	v_mov_b32_e32 v10, s1
	v_add_co_u32_e32 v8, vcc, s0, v8
	v_addc_co_u32_e32 v9, vcc, v9, v10, vcc
	global_store_dwordx2 v[8:9], v[4:5], off
	v_cvt_f32_f64_e32 v5, v[0:1]
	v_mul_f32_e32 v0, v27, v3
	v_fmac_f32_e32 v0, v26, v2
	v_mul_f32_e32 v2, v27, v2
	v_fma_f32 v2, v26, v3, -v2
	v_cvt_f32_f64_e32 v4, v[6:7]
	v_cvt_f64_f32_e32 v[0:1], v0
	v_cvt_f64_f32_e32 v[2:3], v2
	ds_read_b64 v[6:7], v53 offset:1248
	v_add_co_u32_e32 v8, vcc, s0, v8
	v_addc_co_u32_e32 v9, vcc, v9, v10, vcc
	v_mul_f64 v[0:1], v[0:1], s[4:5]
	v_mul_f64 v[2:3], v[2:3], s[4:5]
	global_store_dwordx2 v[8:9], v[4:5], off
	s_waitcnt lgkmcnt(0)
	v_mul_f32_e32 v4, v25, v7
	v_fmac_f32_e32 v4, v24, v6
	v_mul_f32_e32 v6, v25, v6
	v_fma_f32 v6, v24, v7, -v6
	v_cvt_f64_f32_e32 v[4:5], v4
	v_cvt_f64_f32_e32 v[6:7], v6
	v_cvt_f32_f64_e32 v0, v[0:1]
	v_cvt_f32_f64_e32 v1, v[2:3]
	v_mul_f64 v[2:3], v[4:5], s[4:5]
	v_mul_f64 v[4:5], v[6:7], s[4:5]
	v_mov_b32_e32 v7, s1
	v_add_co_u32_e32 v6, vcc, s0, v8
	v_addc_co_u32_e32 v7, vcc, v9, v7, vcc
	global_store_dwordx2 v[6:7], v[0:1], off
	v_cvt_f32_f64_e32 v0, v[2:3]
	v_cvt_f32_f64_e32 v1, v[4:5]
	v_mov_b32_e32 v3, s1
	v_add_co_u32_e32 v2, vcc, s0, v6
	v_addc_co_u32_e32 v3, vcc, v7, v3, vcc
	global_store_dwordx2 v[2:3], v[0:1], off
.LBB0_2:
	s_endpgm
	.section	.rodata,"a",@progbits
	.p2align	6, 0x0
	.amdhsa_kernel bluestein_single_fwd_len169_dim1_sp_op_CI_CI
		.amdhsa_group_segment_fixed_size 25688
		.amdhsa_private_segment_fixed_size 0
		.amdhsa_kernarg_size 104
		.amdhsa_user_sgpr_count 6
		.amdhsa_user_sgpr_private_segment_buffer 1
		.amdhsa_user_sgpr_dispatch_ptr 0
		.amdhsa_user_sgpr_queue_ptr 0
		.amdhsa_user_sgpr_kernarg_segment_ptr 1
		.amdhsa_user_sgpr_dispatch_id 0
		.amdhsa_user_sgpr_flat_scratch_init 0
		.amdhsa_user_sgpr_private_segment_size 0
		.amdhsa_uses_dynamic_stack 0
		.amdhsa_system_sgpr_private_segment_wavefront_offset 0
		.amdhsa_system_sgpr_workgroup_id_x 1
		.amdhsa_system_sgpr_workgroup_id_y 0
		.amdhsa_system_sgpr_workgroup_id_z 0
		.amdhsa_system_sgpr_workgroup_info 0
		.amdhsa_system_vgpr_workitem_id 0
		.amdhsa_next_free_vgpr 106
		.amdhsa_next_free_sgpr 20
		.amdhsa_reserve_vcc 1
		.amdhsa_reserve_flat_scratch 0
		.amdhsa_float_round_mode_32 0
		.amdhsa_float_round_mode_16_64 0
		.amdhsa_float_denorm_mode_32 3
		.amdhsa_float_denorm_mode_16_64 3
		.amdhsa_dx10_clamp 1
		.amdhsa_ieee_mode 1
		.amdhsa_fp16_overflow 0
		.amdhsa_exception_fp_ieee_invalid_op 0
		.amdhsa_exception_fp_denorm_src 0
		.amdhsa_exception_fp_ieee_div_zero 0
		.amdhsa_exception_fp_ieee_overflow 0
		.amdhsa_exception_fp_ieee_underflow 0
		.amdhsa_exception_fp_ieee_inexact 0
		.amdhsa_exception_int_div_zero 0
	.end_amdhsa_kernel
	.text
.Lfunc_end0:
	.size	bluestein_single_fwd_len169_dim1_sp_op_CI_CI, .Lfunc_end0-bluestein_single_fwd_len169_dim1_sp_op_CI_CI
                                        ; -- End function
	.section	.AMDGPU.csdata,"",@progbits
; Kernel info:
; codeLenInByte = 14244
; NumSgprs: 24
; NumVgprs: 106
; ScratchSize: 0
; MemoryBound: 0
; FloatMode: 240
; IeeeMode: 1
; LDSByteSize: 25688 bytes/workgroup (compile time only)
; SGPRBlocks: 2
; VGPRBlocks: 26
; NumSGPRsForWavesPerEU: 24
; NumVGPRsForWavesPerEU: 106
; Occupancy: 2
; WaveLimiterHint : 1
; COMPUTE_PGM_RSRC2:SCRATCH_EN: 0
; COMPUTE_PGM_RSRC2:USER_SGPR: 6
; COMPUTE_PGM_RSRC2:TRAP_HANDLER: 0
; COMPUTE_PGM_RSRC2:TGID_X_EN: 1
; COMPUTE_PGM_RSRC2:TGID_Y_EN: 0
; COMPUTE_PGM_RSRC2:TGID_Z_EN: 0
; COMPUTE_PGM_RSRC2:TIDIG_COMP_CNT: 0
	.type	__hip_cuid_cfccc6378d00b61,@object ; @__hip_cuid_cfccc6378d00b61
	.section	.bss,"aw",@nobits
	.globl	__hip_cuid_cfccc6378d00b61
__hip_cuid_cfccc6378d00b61:
	.byte	0                               ; 0x0
	.size	__hip_cuid_cfccc6378d00b61, 1

	.ident	"AMD clang version 19.0.0git (https://github.com/RadeonOpenCompute/llvm-project roc-6.4.0 25133 c7fe45cf4b819c5991fe208aaa96edf142730f1d)"
	.section	".note.GNU-stack","",@progbits
	.addrsig
	.addrsig_sym __hip_cuid_cfccc6378d00b61
	.amdgpu_metadata
---
amdhsa.kernels:
  - .args:
      - .actual_access:  read_only
        .address_space:  global
        .offset:         0
        .size:           8
        .value_kind:     global_buffer
      - .actual_access:  read_only
        .address_space:  global
        .offset:         8
        .size:           8
        .value_kind:     global_buffer
      - .actual_access:  read_only
        .address_space:  global
        .offset:         16
        .size:           8
        .value_kind:     global_buffer
      - .actual_access:  read_only
        .address_space:  global
        .offset:         24
        .size:           8
        .value_kind:     global_buffer
      - .actual_access:  read_only
        .address_space:  global
        .offset:         32
        .size:           8
        .value_kind:     global_buffer
      - .offset:         40
        .size:           8
        .value_kind:     by_value
      - .address_space:  global
        .offset:         48
        .size:           8
        .value_kind:     global_buffer
      - .address_space:  global
        .offset:         56
        .size:           8
        .value_kind:     global_buffer
      - .address_space:  global
        .offset:         64
        .size:           8
        .value_kind:     global_buffer
      - .address_space:  global
        .offset:         72
        .size:           8
        .value_kind:     global_buffer
      - .offset:         80
        .size:           4
        .value_kind:     by_value
      - .address_space:  global
        .offset:         88
        .size:           8
        .value_kind:     global_buffer
      - .address_space:  global
        .offset:         96
        .size:           8
        .value_kind:     global_buffer
    .group_segment_fixed_size: 25688
    .kernarg_segment_align: 8
    .kernarg_segment_size: 104
    .language:       OpenCL C
    .language_version:
      - 2
      - 0
    .max_flat_workgroup_size: 247
    .name:           bluestein_single_fwd_len169_dim1_sp_op_CI_CI
    .private_segment_fixed_size: 0
    .sgpr_count:     24
    .sgpr_spill_count: 0
    .symbol:         bluestein_single_fwd_len169_dim1_sp_op_CI_CI.kd
    .uniform_work_group_size: 1
    .uses_dynamic_stack: false
    .vgpr_count:     106
    .vgpr_spill_count: 0
    .wavefront_size: 64
amdhsa.target:   amdgcn-amd-amdhsa--gfx906
amdhsa.version:
  - 1
  - 2
...

	.end_amdgpu_metadata
